;; amdgpu-corpus repo=ROCm/rocFFT kind=compiled arch=gfx1030 opt=O3
	.text
	.amdgcn_target "amdgcn-amd-amdhsa--gfx1030"
	.amdhsa_code_object_version 6
	.protected	fft_rtc_back_len1188_factors_6_11_2_3_3_wgs_198_tpt_66_halfLds_dp_op_CI_CI_unitstride_sbrr_R2C_dirReg ; -- Begin function fft_rtc_back_len1188_factors_6_11_2_3_3_wgs_198_tpt_66_halfLds_dp_op_CI_CI_unitstride_sbrr_R2C_dirReg
	.globl	fft_rtc_back_len1188_factors_6_11_2_3_3_wgs_198_tpt_66_halfLds_dp_op_CI_CI_unitstride_sbrr_R2C_dirReg
	.p2align	8
	.type	fft_rtc_back_len1188_factors_6_11_2_3_3_wgs_198_tpt_66_halfLds_dp_op_CI_CI_unitstride_sbrr_R2C_dirReg,@function
fft_rtc_back_len1188_factors_6_11_2_3_3_wgs_198_tpt_66_halfLds_dp_op_CI_CI_unitstride_sbrr_R2C_dirReg: ; @fft_rtc_back_len1188_factors_6_11_2_3_3_wgs_198_tpt_66_halfLds_dp_op_CI_CI_unitstride_sbrr_R2C_dirReg
; %bb.0:
	s_load_dwordx4 s[12:15], s[4:5], 0x0
	v_mul_u32_u24_e32 v1, 0x3e1, v0
	s_clause 0x1
	s_load_dwordx4 s[8:11], s[4:5], 0x58
	s_load_dwordx4 s[16:19], s[4:5], 0x18
	v_mov_b32_e32 v5, 0
	v_lshrrev_b32_e32 v3, 16, v1
	v_mov_b32_e32 v1, 0
	v_mov_b32_e32 v2, 0
	v_mad_u64_u32 v[3:4], null, s6, 3, v[3:4]
	v_mov_b32_e32 v4, v5
	v_mov_b32_e32 v89, v2
	;; [unrolled: 1-line block ×5, first 2 shown]
	s_waitcnt lgkmcnt(0)
	v_cmp_lt_u64_e64 s0, s[14:15], 2
	s_and_b32 vcc_lo, exec_lo, s0
	s_cbranch_vccnz .LBB0_8
; %bb.1:
	s_load_dwordx2 s[0:1], s[4:5], 0x10
	v_mov_b32_e32 v1, 0
	v_mov_b32_e32 v2, 0
	s_add_u32 s2, s18, 8
	v_mov_b32_e32 v8, v4
	s_addc_u32 s3, s19, 0
	v_mov_b32_e32 v7, v3
	v_mov_b32_e32 v89, v2
	s_add_u32 s6, s16, 8
	v_mov_b32_e32 v88, v1
	s_addc_u32 s7, s17, 0
	s_mov_b64 s[22:23], 1
	s_waitcnt lgkmcnt(0)
	s_add_u32 s20, s0, 8
	s_addc_u32 s21, s1, 0
.LBB0_2:                                ; =>This Inner Loop Header: Depth=1
	s_load_dwordx2 s[24:25], s[20:21], 0x0
                                        ; implicit-def: $vgpr92_vgpr93
	s_mov_b32 s0, exec_lo
	s_waitcnt lgkmcnt(0)
	v_or_b32_e32 v6, s25, v8
	v_cmpx_ne_u64_e32 0, v[5:6]
	s_xor_b32 s1, exec_lo, s0
	s_cbranch_execz .LBB0_4
; %bb.3:                                ;   in Loop: Header=BB0_2 Depth=1
	v_cvt_f32_u32_e32 v4, s24
	v_cvt_f32_u32_e32 v6, s25
	s_sub_u32 s0, 0, s24
	s_subb_u32 s26, 0, s25
	v_fmac_f32_e32 v4, 0x4f800000, v6
	v_rcp_f32_e32 v4, v4
	v_mul_f32_e32 v4, 0x5f7ffffc, v4
	v_mul_f32_e32 v6, 0x2f800000, v4
	v_trunc_f32_e32 v6, v6
	v_fmac_f32_e32 v4, 0xcf800000, v6
	v_cvt_u32_f32_e32 v6, v6
	v_cvt_u32_f32_e32 v4, v4
	v_mul_lo_u32 v9, s0, v6
	v_mul_hi_u32 v10, s0, v4
	v_mul_lo_u32 v11, s26, v4
	v_add_nc_u32_e32 v9, v10, v9
	v_mul_lo_u32 v10, s0, v4
	v_add_nc_u32_e32 v9, v9, v11
	v_mul_hi_u32 v11, v4, v10
	v_mul_lo_u32 v12, v4, v9
	v_mul_hi_u32 v13, v4, v9
	v_mul_hi_u32 v14, v6, v10
	v_mul_lo_u32 v10, v6, v10
	v_mul_hi_u32 v15, v6, v9
	v_mul_lo_u32 v9, v6, v9
	v_add_co_u32 v11, vcc_lo, v11, v12
	v_add_co_ci_u32_e32 v12, vcc_lo, 0, v13, vcc_lo
	v_add_co_u32 v10, vcc_lo, v11, v10
	v_add_co_ci_u32_e32 v10, vcc_lo, v12, v14, vcc_lo
	v_add_co_ci_u32_e32 v11, vcc_lo, 0, v15, vcc_lo
	v_add_co_u32 v9, vcc_lo, v10, v9
	v_add_co_ci_u32_e32 v10, vcc_lo, 0, v11, vcc_lo
	v_add_co_u32 v4, vcc_lo, v4, v9
	v_add_co_ci_u32_e32 v6, vcc_lo, v6, v10, vcc_lo
	v_mul_hi_u32 v9, s0, v4
	v_mul_lo_u32 v11, s26, v4
	v_mul_lo_u32 v10, s0, v6
	v_add_nc_u32_e32 v9, v9, v10
	v_mul_lo_u32 v10, s0, v4
	v_add_nc_u32_e32 v9, v9, v11
	v_mul_hi_u32 v11, v4, v10
	v_mul_lo_u32 v12, v4, v9
	v_mul_hi_u32 v13, v4, v9
	v_mul_hi_u32 v14, v6, v10
	v_mul_lo_u32 v10, v6, v10
	v_mul_hi_u32 v15, v6, v9
	v_mul_lo_u32 v9, v6, v9
	v_add_co_u32 v11, vcc_lo, v11, v12
	v_add_co_ci_u32_e32 v12, vcc_lo, 0, v13, vcc_lo
	v_add_co_u32 v10, vcc_lo, v11, v10
	v_add_co_ci_u32_e32 v10, vcc_lo, v12, v14, vcc_lo
	v_add_co_ci_u32_e32 v11, vcc_lo, 0, v15, vcc_lo
	v_add_co_u32 v9, vcc_lo, v10, v9
	v_add_co_ci_u32_e32 v10, vcc_lo, 0, v11, vcc_lo
	v_add_co_u32 v4, vcc_lo, v4, v9
	v_add_co_ci_u32_e32 v6, vcc_lo, v6, v10, vcc_lo
	v_mul_hi_u32 v15, v7, v4
	v_mad_u64_u32 v[11:12], null, v8, v4, 0
	v_mad_u64_u32 v[9:10], null, v7, v6, 0
	;; [unrolled: 1-line block ×3, first 2 shown]
	v_add_co_u32 v4, vcc_lo, v15, v9
	v_add_co_ci_u32_e32 v6, vcc_lo, 0, v10, vcc_lo
	v_add_co_u32 v4, vcc_lo, v4, v11
	v_add_co_ci_u32_e32 v4, vcc_lo, v6, v12, vcc_lo
	v_add_co_ci_u32_e32 v6, vcc_lo, 0, v14, vcc_lo
	v_add_co_u32 v4, vcc_lo, v4, v13
	v_add_co_ci_u32_e32 v6, vcc_lo, 0, v6, vcc_lo
	v_mul_lo_u32 v11, s25, v4
	v_mad_u64_u32 v[9:10], null, s24, v4, 0
	v_mul_lo_u32 v12, s24, v6
	v_sub_co_u32 v9, vcc_lo, v7, v9
	v_add3_u32 v10, v10, v12, v11
	v_sub_nc_u32_e32 v11, v8, v10
	v_subrev_co_ci_u32_e64 v11, s0, s25, v11, vcc_lo
	v_add_co_u32 v12, s0, v4, 2
	v_add_co_ci_u32_e64 v13, s0, 0, v6, s0
	v_sub_co_u32 v14, s0, v9, s24
	v_sub_co_ci_u32_e32 v10, vcc_lo, v8, v10, vcc_lo
	v_subrev_co_ci_u32_e64 v11, s0, 0, v11, s0
	v_cmp_le_u32_e32 vcc_lo, s24, v14
	v_cmp_eq_u32_e64 s0, s25, v10
	v_cndmask_b32_e64 v14, 0, -1, vcc_lo
	v_cmp_le_u32_e32 vcc_lo, s25, v11
	v_cndmask_b32_e64 v15, 0, -1, vcc_lo
	v_cmp_le_u32_e32 vcc_lo, s24, v9
	;; [unrolled: 2-line block ×3, first 2 shown]
	v_cndmask_b32_e64 v16, 0, -1, vcc_lo
	v_cmp_eq_u32_e32 vcc_lo, s25, v11
	v_cndmask_b32_e64 v9, v16, v9, s0
	v_cndmask_b32_e32 v11, v15, v14, vcc_lo
	v_add_co_u32 v14, vcc_lo, v4, 1
	v_add_co_ci_u32_e32 v15, vcc_lo, 0, v6, vcc_lo
	v_cmp_ne_u32_e32 vcc_lo, 0, v11
	v_cndmask_b32_e32 v10, v15, v13, vcc_lo
	v_cndmask_b32_e32 v11, v14, v12, vcc_lo
	v_cmp_ne_u32_e32 vcc_lo, 0, v9
	v_cndmask_b32_e32 v93, v6, v10, vcc_lo
	v_cndmask_b32_e32 v92, v4, v11, vcc_lo
.LBB0_4:                                ;   in Loop: Header=BB0_2 Depth=1
	s_andn2_saveexec_b32 s0, s1
	s_cbranch_execz .LBB0_6
; %bb.5:                                ;   in Loop: Header=BB0_2 Depth=1
	v_cvt_f32_u32_e32 v4, s24
	s_sub_i32 s1, 0, s24
	v_mov_b32_e32 v93, v5
	v_rcp_iflag_f32_e32 v4, v4
	v_mul_f32_e32 v4, 0x4f7ffffe, v4
	v_cvt_u32_f32_e32 v4, v4
	v_mul_lo_u32 v6, s1, v4
	v_mul_hi_u32 v6, v4, v6
	v_add_nc_u32_e32 v4, v4, v6
	v_mul_hi_u32 v4, v7, v4
	v_mul_lo_u32 v6, v4, s24
	v_add_nc_u32_e32 v9, 1, v4
	v_sub_nc_u32_e32 v6, v7, v6
	v_subrev_nc_u32_e32 v10, s24, v6
	v_cmp_le_u32_e32 vcc_lo, s24, v6
	v_cndmask_b32_e32 v6, v6, v10, vcc_lo
	v_cndmask_b32_e32 v4, v4, v9, vcc_lo
	v_cmp_le_u32_e32 vcc_lo, s24, v6
	v_add_nc_u32_e32 v9, 1, v4
	v_cndmask_b32_e32 v92, v4, v9, vcc_lo
.LBB0_6:                                ;   in Loop: Header=BB0_2 Depth=1
	s_or_b32 exec_lo, exec_lo, s0
	v_mul_lo_u32 v4, v93, s24
	v_mul_lo_u32 v6, v92, s25
	s_load_dwordx2 s[0:1], s[6:7], 0x0
	v_mad_u64_u32 v[9:10], null, v92, s24, 0
	s_load_dwordx2 s[24:25], s[2:3], 0x0
	s_add_u32 s22, s22, 1
	s_addc_u32 s23, s23, 0
	s_add_u32 s2, s2, 8
	s_addc_u32 s3, s3, 0
	s_add_u32 s6, s6, 8
	v_add3_u32 v4, v10, v6, v4
	v_sub_co_u32 v6, vcc_lo, v7, v9
	s_addc_u32 s7, s7, 0
	s_add_u32 s20, s20, 8
	v_sub_co_ci_u32_e32 v4, vcc_lo, v8, v4, vcc_lo
	s_addc_u32 s21, s21, 0
	s_waitcnt lgkmcnt(0)
	v_mul_lo_u32 v7, s0, v4
	v_mul_lo_u32 v8, s1, v6
	v_mad_u64_u32 v[1:2], null, s0, v6, v[1:2]
	v_mul_lo_u32 v4, s24, v4
	v_mul_lo_u32 v9, s25, v6
	v_mad_u64_u32 v[88:89], null, s24, v6, v[88:89]
	v_cmp_ge_u64_e64 s0, s[22:23], s[14:15]
	v_add3_u32 v2, v8, v2, v7
	v_add3_u32 v89, v9, v89, v4
	s_and_b32 vcc_lo, exec_lo, s0
	s_cbranch_vccnz .LBB0_8
; %bb.7:                                ;   in Loop: Header=BB0_2 Depth=1
	v_mov_b32_e32 v7, v92
	v_mov_b32_e32 v8, v93
	s_branch .LBB0_2
.LBB0_8:
	s_load_dwordx2 s[0:1], s[4:5], 0x28
	v_mul_hi_u32 v4, 0xaaaaaaab, v3
	s_lshl_b64 s[4:5], s[14:15], 3
                                        ; implicit-def: $vgpr90
                                        ; implicit-def: $vgpr94
                                        ; implicit-def: $vgpr96
	s_add_u32 s2, s18, s4
	s_addc_u32 s3, s19, s5
	v_lshrrev_b32_e32 v4, 1, v4
	v_lshl_add_u32 v5, v4, 1, v4
	v_mul_hi_u32 v4, 0x3e0f83f, v0
	v_sub_nc_u32_e32 v3, v3, v5
	s_waitcnt lgkmcnt(0)
	v_cmp_gt_u64_e32 vcc_lo, s[0:1], v[92:93]
	v_cmp_le_u64_e64 s0, s[0:1], v[92:93]
	s_and_saveexec_b32 s1, s0
	s_xor_b32 s0, exec_lo, s1
; %bb.9:
	v_mul_u32_u24_e32 v1, 0x42, v4
                                        ; implicit-def: $vgpr4
	v_sub_nc_u32_e32 v90, v0, v1
                                        ; implicit-def: $vgpr0
                                        ; implicit-def: $vgpr1_vgpr2
	v_add_nc_u32_e32 v94, 0x42, v90
	v_add_nc_u32_e32 v96, 0x84, v90
; %bb.10:
	s_or_saveexec_b32 s1, s0
	v_mul_u32_u24_e32 v3, 0x4a5, v3
	v_lshlrev_b32_e32 v150, 4, v3
	s_xor_b32 exec_lo, exec_lo, s1
	s_cbranch_execz .LBB0_12
; %bb.11:
	s_add_u32 s4, s16, s4
	s_addc_u32 s5, s17, s5
	v_lshlrev_b64 v[1:2], 4, v[1:2]
	s_load_dwordx2 s[4:5], s[4:5], 0x0
	s_waitcnt lgkmcnt(0)
	v_mul_lo_u32 v3, s5, v92
	v_mul_lo_u32 v7, s4, v93
	v_mad_u64_u32 v[5:6], null, s4, v92, 0
	v_add3_u32 v6, v6, v7, v3
	v_mul_u32_u24_e32 v7, 0x42, v4
	v_lshlrev_b64 v[3:4], 4, v[5:6]
	v_sub_nc_u32_e32 v90, v0, v7
	v_lshlrev_b32_e32 v72, 4, v90
	v_add_co_u32 v0, s0, s8, v3
	v_add_co_ci_u32_e64 v3, s0, s9, v4, s0
	v_add_nc_u32_e32 v94, 0x42, v90
	v_add_co_u32 v0, s0, v0, v1
	v_add_co_ci_u32_e64 v1, s0, v3, v2, s0
	v_add_nc_u32_e32 v96, 0x84, v90
	v_add_co_u32 v8, s0, v0, v72
	v_add_co_ci_u32_e64 v9, s0, 0, v1, s0
	s_clause 0x1
	global_load_dwordx4 v[0:3], v[8:9], off
	global_load_dwordx4 v[4:7], v[8:9], off offset:1056
	v_add_co_u32 v12, s0, 0x800, v8
	v_add_co_ci_u32_e64 v13, s0, 0, v9, s0
	v_add_co_u32 v20, s0, 0x1000, v8
	v_add_co_ci_u32_e64 v21, s0, 0, v9, s0
	;; [unrolled: 2-line block ×8, first 2 shown]
	s_clause 0xf
	global_load_dwordx4 v[8:11], v[12:13], off offset:64
	global_load_dwordx4 v[12:15], v[12:13], off offset:1120
	global_load_dwordx4 v[16:19], v[20:21], off offset:128
	global_load_dwordx4 v[20:23], v[20:21], off offset:1184
	global_load_dwordx4 v[24:27], v[28:29], off offset:192
	global_load_dwordx4 v[28:31], v[28:29], off offset:1248
	global_load_dwordx4 v[32:35], v[36:37], off offset:256
	global_load_dwordx4 v[36:39], v[36:37], off offset:1312
	global_load_dwordx4 v[40:43], v[44:45], off offset:320
	global_load_dwordx4 v[44:47], v[44:45], off offset:1376
	global_load_dwordx4 v[48:51], v[52:53], off offset:384
	global_load_dwordx4 v[52:55], v[52:53], off offset:1440
	global_load_dwordx4 v[56:59], v[60:61], off offset:448
	global_load_dwordx4 v[60:63], v[60:61], off offset:1504
	global_load_dwordx4 v[64:67], v[68:69], off offset:512
	global_load_dwordx4 v[68:71], v[68:69], off offset:1568
	v_add3_u32 v72, 0, v150, v72
	s_waitcnt vmcnt(17)
	ds_write_b128 v72, v[0:3]
	s_waitcnt vmcnt(16)
	ds_write_b128 v72, v[4:7] offset:1056
	s_waitcnt vmcnt(15)
	ds_write_b128 v72, v[8:11] offset:2112
	;; [unrolled: 2-line block ×17, first 2 shown]
.LBB0_12:
	s_or_b32 exec_lo, exec_lo, s1
	v_lshlrev_b32_e32 v95, 4, v90
	s_load_dwordx2 s[2:3], s[2:3], 0x0
	s_waitcnt lgkmcnt(0)
	s_barrier
	buffer_gl0_inv
	v_add_nc_u32_e32 v0, 0, v95
	v_add_nc_u32_e32 v147, 0, v150
	v_mul_u32_u24_e32 v20, 6, v90
	s_mov_b32 s4, 0xe8584caa
	s_mov_b32 s5, 0xbfebb67a
	v_add_nc_u32_e32 v149, v0, v150
	v_add_nc_u32_e32 v148, v147, v95
	v_lshl_add_u32 v91, v20, 4, v147
	s_mov_b32 s1, 0x3febb67a
	s_mov_b32 s0, s4
	ds_read_b128 v[0:3], v149 offset:9504
	ds_read_b128 v[4:7], v149 offset:15840
	;; [unrolled: 1-line block ×3, first 2 shown]
	ds_read_b128 v[12:15], v148
	ds_read_b128 v[16:19], v149 offset:12672
	ds_read_b128 v[20:23], v149 offset:1056
	;; [unrolled: 1-line block ×14, first 2 shown]
	s_waitcnt lgkmcnt(0)
	s_barrier
	buffer_gl0_inv
	v_lshlrev_b32_e32 v151, 4, v94
	v_add_f64 v[99:100], v[20:21], v[24:25]
	v_add_f64 v[101:102], v[22:23], v[26:27]
	;; [unrolled: 1-line block ×7, first 2 shown]
	v_add_f64 v[0:1], v[0:1], -v[4:5]
	v_add_f64 v[111:112], v[66:67], v[70:71]
	v_add_f64 v[74:75], v[12:13], v[8:9]
	;; [unrolled: 1-line block ×3, first 2 shown]
	v_add_f64 v[80:81], v[10:11], -v[18:19]
	v_add_f64 v[10:11], v[10:11], v[18:19]
	v_add_f64 v[105:106], v[56:57], v[44:45]
	;; [unrolled: 1-line block ×4, first 2 shown]
	v_add_f64 v[44:45], v[44:45], -v[48:49]
	v_add_f64 v[113:114], v[52:53], v[36:37]
	v_add_f64 v[78:79], v[8:9], v[16:17]
	v_add_f64 v[2:3], v[2:3], -v[6:7]
	v_add_f64 v[103:104], v[26:27], -v[34:35]
	v_add_f64 v[26:27], v[26:27], v[34:35]
	v_add_f64 v[117:118], v[36:37], v[40:41]
	v_add_f64 v[121:122], v[36:37], -v[40:41]
	v_add_f64 v[36:37], v[60:61], v[64:65]
	v_fma_f64 v[30:31], v[72:73], -0.5, v[30:31]
	v_add_f64 v[123:124], v[62:63], v[66:67]
	v_fma_f64 v[28:29], v[86:87], -0.5, v[28:29]
	v_fma_f64 v[58:59], v[97:98], -0.5, v[58:59]
	v_add_f64 v[86:87], v[64:65], v[68:69]
	v_add_f64 v[64:65], v[64:65], -v[68:69]
	v_fma_f64 v[62:63], v[111:112], -0.5, v[62:63]
	v_add_f64 v[115:116], v[54:55], v[38:39]
	v_add_f64 v[119:120], v[38:39], -v[42:43]
	v_add_f64 v[38:39], v[38:39], v[42:43]
	v_add_f64 v[8:9], v[8:9], -v[16:17]
	;; [unrolled: 2-line block ×3, first 2 shown]
	v_add_f64 v[46:47], v[46:47], -v[50:51]
	v_add_f64 v[16:17], v[74:75], v[16:17]
	v_add_f64 v[4:5], v[82:83], v[4:5]
	v_fma_f64 v[10:11], v[10:11], -0.5, v[14:15]
	v_add_f64 v[14:15], v[99:100], v[32:33]
	v_add_f64 v[82:83], v[113:114], v[40:41]
	v_fma_f64 v[32:33], v[109:110], -0.5, v[56:57]
	v_add_f64 v[74:75], v[101:102], v[34:35]
	v_add_f64 v[66:67], v[66:67], -v[70:71]
	v_fma_f64 v[97:98], v[0:1], s[0:1], v[30:31]
	v_fma_f64 v[0:1], v[0:1], s[4:5], v[30:31]
	v_add_f64 v[18:19], v[76:77], v[18:19]
	v_fma_f64 v[40:41], v[44:45], s[4:5], v[58:59]
	v_fma_f64 v[34:35], v[44:45], s[0:1], v[58:59]
	v_fma_f64 v[12:13], v[78:79], -0.5, v[12:13]
	v_add_f64 v[76:77], v[105:106], v[48:49]
	v_add_f64 v[78:79], v[107:108], v[50:51]
	;; [unrolled: 1-line block ×3, first 2 shown]
	v_fma_f64 v[36:37], v[2:3], s[4:5], v[28:29]
	v_fma_f64 v[2:3], v[2:3], s[0:1], v[28:29]
	v_fma_f64 v[50:51], v[86:87], -0.5, v[60:61]
	v_fma_f64 v[22:23], v[26:27], -0.5, v[22:23]
	v_fma_f64 v[26:27], v[64:65], s[0:1], v[62:63]
	v_fma_f64 v[54:55], v[38:39], -0.5, v[54:55]
	v_fma_f64 v[38:39], v[64:65], s[4:5], v[62:63]
	v_add_f64 v[6:7], v[84:85], v[6:7]
	v_add_f64 v[84:85], v[115:116], v[42:43]
	v_fma_f64 v[20:21], v[72:73], -0.5, v[20:21]
	v_add_f64 v[28:29], v[16:17], v[4:5]
	v_fma_f64 v[60:61], v[46:47], s[4:5], v[32:33]
	v_fma_f64 v[62:63], v[46:47], s[0:1], v[32:33]
	v_mul_f64 v[42:43], v[97:98], s[4:5]
	v_mul_f64 v[48:49], v[0:1], s[4:5]
	v_mul_f64 v[0:1], v[0:1], -0.5
	v_mul_f64 v[44:45], v[97:98], 0.5
	v_mul_f64 v[72:73], v[40:41], s[4:5]
	v_add_f64 v[32:33], v[16:17], -v[4:5]
	v_mul_f64 v[4:5], v[40:41], -0.5
	v_mul_f64 v[46:47], v[34:35], s[4:5]
	v_mul_f64 v[64:65], v[34:35], 0.5
	v_fma_f64 v[52:53], v[117:118], -0.5, v[52:53]
	v_fma_f64 v[58:59], v[8:9], s[0:1], v[10:11]
	v_fma_f64 v[8:9], v[8:9], s[4:5], v[10:11]
	;; [unrolled: 1-line block ×3, first 2 shown]
	v_mul_f64 v[16:17], v[26:27], s[4:5]
	v_mul_f64 v[26:27], v[26:27], 0.5
	v_fma_f64 v[12:13], v[80:81], s[0:1], v[12:13]
	v_mul_f64 v[80:81], v[38:39], s[4:5]
	v_mul_f64 v[86:87], v[38:39], -0.5
	v_add_f64 v[70:71], v[123:124], v[70:71]
	v_add_f64 v[30:31], v[18:19], v[6:7]
	v_add_f64 v[34:35], v[18:19], -v[6:7]
	v_fma_f64 v[6:7], v[103:104], s[4:5], v[20:21]
	v_fma_f64 v[42:43], v[36:37], 0.5, v[42:43]
	v_fma_f64 v[10:11], v[2:3], -0.5, v[48:49]
	v_fma_f64 v[0:1], v[2:3], s[0:1], v[0:1]
	v_fma_f64 v[2:3], v[66:67], s[4:5], v[50:51]
	;; [unrolled: 1-line block ×7, first 2 shown]
	v_fma_f64 v[72:73], v[62:63], -0.5, v[72:73]
	v_fma_f64 v[4:5], v[62:63], s[0:1], v[4:5]
	v_fma_f64 v[24:25], v[60:61], 0.5, v[46:47]
	v_fma_f64 v[97:98], v[60:61], s[0:1], v[64:65]
	v_fma_f64 v[99:100], v[119:120], s[4:5], v[52:53]
	;; [unrolled: 1-line block ×5, first 2 shown]
	v_add_f64 v[52:53], v[14:15], v[76:77]
	v_add_f64 v[54:55], v[74:75], v[78:79]
	;; [unrolled: 1-line block ×3, first 2 shown]
	v_add_f64 v[40:41], v[56:57], -v[42:43]
	v_add_f64 v[46:47], v[8:9], v[0:1]
	v_fma_f64 v[16:17], v[2:3], 0.5, v[16:17]
	v_fma_f64 v[26:27], v[2:3], s[0:1], v[26:27]
	v_fma_f64 v[80:81], v[66:67], -0.5, v[80:81]
	v_fma_f64 v[86:87], v[66:67], s[0:1], v[86:87]
	v_add_f64 v[38:39], v[58:59], v[44:45]
	v_add_f64 v[42:43], v[58:59], -v[44:45]
	v_add_f64 v[44:45], v[12:13], v[10:11]
	v_add_f64 v[48:49], v[12:13], -v[10:11]
	v_add_f64 v[50:51], v[8:9], -v[0:1]
	;; [unrolled: 1-line block ×3, first 2 shown]
	v_add_f64 v[8:9], v[82:83], v[68:69]
	v_add_f64 v[10:11], v[84:85], v[70:71]
	v_add_f64 v[12:13], v[82:83], -v[68:69]
	v_add_f64 v[14:15], v[84:85], -v[70:71]
	v_add_f64 v[68:69], v[20:21], v[72:73]
	v_add_f64 v[70:71], v[22:23], v[4:5]
	v_add_f64 v[58:59], v[74:75], -v[78:79]
	v_add_f64 v[64:65], v[6:7], -v[24:25]
	v_add_f64 v[66:67], v[18:19], -v[97:98]
	v_add_f64 v[60:61], v[6:7], v[24:25]
	v_add_f64 v[62:63], v[18:19], v[97:98]
	v_add_f64 v[0:1], v[20:21], -v[72:73]
	v_add_f64 v[2:3], v[22:23], -v[4:5]
	v_add_f64 v[4:5], v[99:100], v[16:17]
	v_add_f64 v[6:7], v[101:102], v[26:27]
	v_add_f64 v[20:21], v[99:100], -v[16:17]
	v_add_f64 v[16:17], v[103:104], v[80:81]
	v_add_f64 v[18:19], v[105:106], v[86:87]
	v_add_f64 v[22:23], v[101:102], -v[26:27]
	v_add_f64 v[24:25], v[103:104], -v[80:81]
	;; [unrolled: 1-line block ×3, first 2 shown]
	v_mul_i32_i24_e32 v72, 6, v94
	ds_write_b128 v91, v[28:31]
	ds_write_b128 v91, v[32:35] offset:48
	ds_write_b128 v91, v[36:39] offset:16
	v_mul_i32_i24_e32 v29, 6, v96
	ds_write_b128 v91, v[44:47] offset:32
	v_cmp_gt_u32_e64 s0, 42, v90
	v_lshl_add_u32 v28, v72, 4, v147
	ds_write_b128 v91, v[40:43] offset:64
	ds_write_b128 v91, v[48:51] offset:80
	ds_write_b128 v28, v[52:55]
	ds_write_b128 v28, v[60:63] offset:16
	v_lshl_add_u32 v29, v29, 4, v147
	ds_write_b128 v28, v[68:71] offset:32
	ds_write_b128 v28, v[56:59] offset:48
	;; [unrolled: 1-line block ×4, first 2 shown]
	ds_write_b128 v29, v[8:11]
	ds_write_b128 v29, v[4:7] offset:16
	ds_write_b128 v29, v[16:19] offset:32
	;; [unrolled: 1-line block ×5, first 2 shown]
	s_waitcnt lgkmcnt(0)
	s_barrier
	buffer_gl0_inv
	ds_read_b128 v[44:47], v148
	ds_read_b128 v[84:87], v149 offset:1728
	ds_read_b128 v[80:83], v149 offset:3456
	;; [unrolled: 1-line block ×10, first 2 shown]
                                        ; implicit-def: $vgpr42_vgpr43
                                        ; implicit-def: $vgpr30_vgpr31
                                        ; implicit-def: $vgpr38_vgpr39
                                        ; implicit-def: $vgpr34_vgpr35
	s_and_saveexec_b32 s1, s0
	s_cbranch_execz .LBB0_14
; %bb.13:
	v_add3_u32 v0, 0, v151, v150
	ds_read_b128 v[8:11], v149 offset:2784
	ds_read_b128 v[4:7], v149 offset:4512
	;; [unrolled: 1-line block ×4, first 2 shown]
	ds_read_b128 v[0:3], v0
	ds_read_b128 v[20:23], v149 offset:9696
	ds_read_b128 v[24:27], v149 offset:11424
	;; [unrolled: 1-line block ×6, first 2 shown]
.LBB0_14:
	s_or_b32 exec_lo, exec_lo, s1
	v_and_b32_e32 v91, 0xff, v90
	s_mov_b32 s22, 0x8eee2c13
	s_mov_b32 s23, 0xbfed1bb4
	;; [unrolled: 1-line block ×4, first 2 shown]
	v_mul_lo_u16 v91, 0xab, v91
	s_mov_b32 s20, 0x43842ef
	s_mov_b32 s24, 0xbb3a28a1
	;; [unrolled: 1-line block ×4, first 2 shown]
	v_lshrrev_b16 v153, 10, v91
	v_mov_b32_e32 v91, 10
	s_mov_b32 s9, 0x3fda9628
	s_mov_b32 s21, 0xbfefac9e
	;; [unrolled: 1-line block ×3, first 2 shown]
	v_mul_lo_u16 v97, v153, 6
	s_mov_b32 s27, 0xbfd207e7
	s_mov_b32 s6, 0x8764f0ba
	;; [unrolled: 1-line block ×4, first 2 shown]
	v_sub_nc_u16 v152, v90, v97
	s_mov_b32 s14, 0x9bcd5057
	s_mov_b32 s7, 0x3feaeb8c
	;; [unrolled: 1-line block ×4, first 2 shown]
	v_mul_u32_u24_sdwa v97, v152, v91 dst_sel:DWORD dst_unused:UNUSED_PAD src0_sel:BYTE_0 src1_sel:DWORD
	s_mov_b32 s15, 0xbfeeb42a
	s_mov_b32 s35, 0x3fe14ced
	;; [unrolled: 1-line block ×4, first 2 shown]
	v_lshlrev_b32_e32 v107, 4, v97
	s_mov_b32 s39, 0x3fe82f19
	s_mov_b32 s31, 0x3fd207e7
	;; [unrolled: 1-line block ×4, first 2 shown]
	s_clause 0x1
	global_load_dwordx4 v[97:100], v107, s[12:13]
	global_load_dwordx4 v[101:104], v107, s[12:13] offset:16
	s_mov_b32 s36, s20
	s_mov_b32 s38, s24
	;; [unrolled: 1-line block ×3, first 2 shown]
	s_waitcnt vmcnt(1) lgkmcnt(9)
	v_mul_f64 v[105:106], v[86:87], v[99:100]
	v_fma_f64 v[105:106], v[84:85], v[97:98], v[105:106]
	v_mul_f64 v[84:85], v[84:85], v[99:100]
	v_fma_f64 v[86:87], v[86:87], v[97:98], -v[84:85]
	s_waitcnt vmcnt(0) lgkmcnt(8)
	v_mul_f64 v[84:85], v[82:83], v[103:104]
	v_mul_f64 v[97:98], v[80:81], v[103:104]
	v_fma_f64 v[80:81], v[80:81], v[101:102], v[84:85]
	v_fma_f64 v[82:83], v[82:83], v[101:102], -v[97:98]
	s_clause 0x1
	global_load_dwordx4 v[97:100], v107, s[12:13] offset:32
	global_load_dwordx4 v[101:104], v107, s[12:13] offset:48
	s_waitcnt vmcnt(1) lgkmcnt(7)
	v_mul_f64 v[84:85], v[74:75], v[99:100]
	v_fma_f64 v[84:85], v[72:73], v[97:98], v[84:85]
	v_mul_f64 v[72:73], v[72:73], v[99:100]
	v_fma_f64 v[72:73], v[74:75], v[97:98], -v[72:73]
	s_waitcnt vmcnt(0) lgkmcnt(6)
	v_mul_f64 v[74:75], v[78:79], v[103:104]
	v_mul_f64 v[97:98], v[76:77], v[103:104]
	v_fma_f64 v[74:75], v[76:77], v[101:102], v[74:75]
	v_fma_f64 v[76:77], v[78:79], v[101:102], -v[97:98]
	s_clause 0x1
	global_load_dwordx4 v[97:100], v107, s[12:13] offset:64
	global_load_dwordx4 v[101:104], v107, s[12:13] offset:80
	;; [unrolled: 13-line block ×3, first 2 shown]
	v_add_f64 v[184:185], v[78:79], v[64:65]
	v_add_f64 v[182:183], v[68:69], -v[66:67]
	v_add_f64 v[188:189], v[68:69], v[66:67]
	v_add_f64 v[190:191], v[78:79], -v[64:65]
	v_mul_f64 v[186:187], v[182:183], s[26:27]
	v_mul_f64 v[192:193], v[188:189], s[14:15]
	;; [unrolled: 1-line block ×4, first 2 shown]
	s_waitcnt vmcnt(1) lgkmcnt(3)
	v_mul_f64 v[70:71], v[62:63], v[99:100]
	v_fma_f64 v[70:71], v[60:61], v[97:98], v[70:71]
	v_mul_f64 v[60:61], v[60:61], v[99:100]
	v_add_f64 v[172:173], v[74:75], v[70:71]
	v_fma_f64 v[60:61], v[62:63], v[97:98], -v[60:61]
	s_waitcnt vmcnt(0) lgkmcnt(2)
	v_mul_f64 v[97:98], v[56:57], v[103:104]
	v_mul_f64 v[62:63], v[58:59], v[103:104]
	v_add_f64 v[178:179], v[74:75], -v[70:71]
	v_add_f64 v[170:171], v[76:77], -v[60:61]
	v_fma_f64 v[58:59], v[58:59], v[101:102], -v[97:98]
	global_load_dwordx4 v[97:100], v107, s[12:13] offset:144
	v_fma_f64 v[56:57], v[56:57], v[101:102], v[62:63]
	v_add_f64 v[176:177], v[76:77], v[60:61]
	v_mul_f64 v[174:175], v[170:171], s[24:25]
	v_add_f64 v[166:167], v[72:73], -v[58:59]
	v_add_f64 v[168:169], v[72:73], v[58:59]
	v_mul_f64 v[198:199], v[170:171], s[36:37]
	v_mul_f64 v[180:181], v[176:177], s[16:17]
	;; [unrolled: 1-line block ×5, first 2 shown]
	s_waitcnt vmcnt(0) lgkmcnt(0)
	v_mul_f64 v[62:63], v[52:53], v[99:100]
	v_mul_f64 v[99:100], v[54:55], v[99:100]
	v_fma_f64 v[54:55], v[54:55], v[97:98], -v[62:63]
	v_fma_f64 v[52:53], v[52:53], v[97:98], v[99:100]
	global_load_dwordx4 v[97:100], v107, s[12:13] offset:128
	s_waitcnt vmcnt(0)
	s_barrier
	buffer_gl0_inv
	v_add_f64 v[101:102], v[86:87], -v[54:55]
	v_add_f64 v[107:108], v[105:106], v[52:53]
	v_add_f64 v[127:128], v[105:106], -v[52:53]
	v_mul_f64 v[103:104], v[101:102], s[24:25]
	v_fma_f64 v[119:120], v[107:108], s[16:17], v[103:104]
	v_fma_f64 v[103:104], v[107:108], s[16:17], -v[103:104]
	v_mul_f64 v[62:63], v[50:51], v[99:100]
	v_mul_f64 v[99:100], v[48:49], v[99:100]
	v_fma_f64 v[48:49], v[48:49], v[97:98], v[62:63]
	v_fma_f64 v[50:51], v[50:51], v[97:98], -v[99:100]
	v_mul_f64 v[97:98], v[101:102], s[22:23]
	v_mul_f64 v[62:63], v[101:102], s[18:19]
	;; [unrolled: 1-line block ×4, first 2 shown]
	v_fma_f64 v[111:112], v[107:108], s[8:9], v[97:98]
	v_fma_f64 v[113:114], v[107:108], s[8:9], -v[97:98]
	v_add_f64 v[97:98], v[86:87], v[54:55]
	v_fma_f64 v[109:110], v[107:108], s[6:7], v[62:63]
	v_fma_f64 v[62:63], v[107:108], s[6:7], -v[62:63]
	v_fma_f64 v[115:116], v[107:108], s[4:5], v[99:100]
	v_fma_f64 v[117:118], v[107:108], s[4:5], -v[99:100]
	;; [unrolled: 2-line block ×3, first 2 shown]
	v_add_f64 v[164:165], v[44:45], v[111:112]
	v_add_f64 v[143:144], v[44:45], v[113:114]
	v_mul_f64 v[99:100], v[97:98], s[6:7]
	v_mul_f64 v[107:108], v[97:98], s[8:9]
	;; [unrolled: 1-line block ×5, first 2 shown]
	v_add_f64 v[162:163], v[44:45], v[109:110]
	v_add_f64 v[139:140], v[44:45], v[115:116]
	;; [unrolled: 1-line block ×5, first 2 shown]
	v_fma_f64 v[129:130], v[127:128], s[34:35], v[99:100]
	v_fma_f64 v[131:132], v[127:128], s[18:19], v[99:100]
	;; [unrolled: 1-line block ×10, first 2 shown]
	v_add_f64 v[127:128], v[44:45], v[117:118]
	v_add_f64 v[117:118], v[82:83], -v[50:51]
	v_add_f64 v[97:98], v[44:45], v[105:106]
	v_add_f64 v[99:100], v[46:47], v[86:87]
	;; [unrolled: 1-line block ×3, first 2 shown]
	v_mul_f64 v[103:104], v[121:122], s[8:9]
	v_add_f64 v[129:130], v[46:47], v[129:130]
	v_add_f64 v[62:63], v[46:47], v[131:132]
	;; [unrolled: 1-line block ×13, first 2 shown]
	v_mul_f64 v[46:47], v[117:118], s[22:23]
	v_add_f64 v[82:83], v[99:100], v[82:83]
	v_fma_f64 v[101:102], v[44:45], s[8:9], v[46:47]
	v_add_f64 v[72:73], v[82:83], v[72:73]
	v_add_f64 v[133:134], v[101:102], v[162:163]
	v_add_f64 v[101:102], v[80:81], -v[48:49]
	v_mul_f64 v[162:163], v[117:118], s[24:25]
	v_add_f64 v[80:81], v[97:98], v[80:81]
	v_add_f64 v[72:73], v[72:73], v[76:77]
	v_mov_b32_e32 v97, 4
	v_fma_f64 v[131:132], v[101:102], s[28:29], v[103:104]
	v_add_f64 v[80:81], v[80:81], v[84:85]
	v_add_f64 v[68:69], v[72:73], v[68:69]
	;; [unrolled: 1-line block ×4, first 2 shown]
	v_mul_f64 v[131:132], v[166:167], s[20:21]
	v_add_f64 v[74:75], v[80:81], v[74:75]
	v_fma_f64 v[135:136], v[129:130], s[4:5], v[131:132]
	v_add_f64 v[74:75], v[74:75], v[78:79]
	v_add_f64 v[156:157], v[135:136], v[133:134]
	v_add_f64 v[133:134], v[84:85], -v[56:57]
	v_mul_f64 v[135:136], v[168:169], s[4:5]
	v_fma_f64 v[158:159], v[133:134], s[36:37], v[135:136]
	v_fma_f64 v[72:73], v[133:134], s[20:21], v[135:136]
	v_add_f64 v[154:155], v[158:159], v[154:155]
	v_fma_f64 v[158:159], v[172:173], s[16:17], v[174:175]
	v_add_f64 v[156:157], v[158:159], v[156:157]
	;; [unrolled: 2-line block ×6, first 2 shown]
	v_mul_f64 v[164:165], v[121:122], s[16:17]
	v_fma_f64 v[160:161], v[101:102], s[38:39], v[164:165]
	v_add_f64 v[145:146], v[160:161], v[145:146]
	v_fma_f64 v[160:161], v[129:130], s[14:15], v[194:195]
	v_add_f64 v[158:159], v[160:161], v[158:159]
	v_fma_f64 v[160:161], v[133:134], s[26:27], v[196:197]
	v_add_f64 v[145:146], v[160:161], v[145:146]
	v_fma_f64 v[160:161], v[172:173], s[4:5], v[198:199]
	v_add_f64 v[158:159], v[160:161], v[158:159]
	v_fma_f64 v[160:161], v[178:179], s[20:21], v[200:201]
	v_add_f64 v[145:146], v[160:161], v[145:146]
	v_fma_f64 v[160:161], v[184:185], s[6:7], v[202:203]
	v_add_f64 v[158:159], v[160:161], v[158:159]
	v_fma_f64 v[160:161], v[190:191], s[18:19], v[204:205]
	v_add_f64 v[160:161], v[160:161], v[145:146]
	v_fma_f64 v[145:146], v[44:45], s[16:17], -v[162:163]
	v_fma_f64 v[162:163], v[190:191], s[34:35], v[204:205]
	v_mul_f64 v[204:205], v[188:189], s[16:17]
	v_add_f64 v[143:144], v[145:146], v[143:144]
	v_fma_f64 v[145:146], v[101:102], s[24:25], v[164:165]
	v_add_f64 v[141:142], v[145:146], v[141:142]
	v_fma_f64 v[145:146], v[129:130], s[14:15], -v[194:195]
	v_add_f64 v[143:144], v[145:146], v[143:144]
	v_fma_f64 v[145:146], v[133:134], s[30:31], v[196:197]
	v_add_f64 v[141:142], v[145:146], v[141:142]
	v_fma_f64 v[145:146], v[172:173], s[4:5], -v[198:199]
	;; [unrolled: 4-line block ×3, first 2 shown]
	v_mul_f64 v[202:203], v[182:183], s[24:25]
	v_add_f64 v[141:142], v[141:142], v[143:144]
	v_add_f64 v[143:144], v[162:163], v[145:146]
	v_mul_f64 v[145:146], v[117:118], s[30:31]
	v_fma_f64 v[162:163], v[44:45], s[14:15], v[145:146]
	v_fma_f64 v[145:146], v[44:45], s[14:15], -v[145:146]
	v_add_f64 v[139:140], v[162:163], v[139:140]
	v_mul_f64 v[162:163], v[121:122], s[14:15]
	v_add_f64 v[127:128], v[145:146], v[127:128]
	v_fma_f64 v[164:165], v[101:102], s[26:27], v[162:163]
	v_fma_f64 v[145:146], v[101:102], s[30:31], v[162:163]
	;; [unrolled: 1-line block ×3, first 2 shown]
	v_add_f64 v[137:138], v[164:165], v[137:138]
	v_mul_f64 v[164:165], v[166:167], s[28:29]
	v_add_f64 v[125:126], v[145:146], v[125:126]
	v_fma_f64 v[194:195], v[129:130], s[8:9], v[164:165]
	v_fma_f64 v[145:146], v[129:130], s[8:9], -v[164:165]
	v_add_f64 v[139:140], v[194:195], v[139:140]
	v_mul_f64 v[194:195], v[168:169], s[8:9]
	v_add_f64 v[127:128], v[145:146], v[127:128]
	v_fma_f64 v[196:197], v[133:134], s[22:23], v[194:195]
	v_fma_f64 v[145:146], v[133:134], s[28:29], v[194:195]
	v_mul_f64 v[194:195], v[121:122], s[4:5]
	v_add_f64 v[137:138], v[196:197], v[137:138]
	v_mul_f64 v[196:197], v[170:171], s[18:19]
	v_add_f64 v[125:126], v[145:146], v[125:126]
	v_fma_f64 v[198:199], v[172:173], s[6:7], v[196:197]
	v_fma_f64 v[145:146], v[172:173], s[6:7], -v[196:197]
	v_mul_f64 v[196:197], v[166:167], s[18:19]
	v_add_f64 v[139:140], v[198:199], v[139:140]
	v_mul_f64 v[198:199], v[176:177], s[6:7]
	v_add_f64 v[127:128], v[145:146], v[127:128]
	v_fma_f64 v[145:146], v[178:179], s[18:19], v[198:199]
	v_fma_f64 v[200:201], v[178:179], s[34:35], v[198:199]
	v_mul_f64 v[198:199], v[168:169], s[6:7]
	v_add_f64 v[145:146], v[145:146], v[125:126]
	v_fma_f64 v[125:126], v[184:185], s[16:17], -v[202:203]
	v_add_f64 v[200:201], v[200:201], v[137:138]
	v_fma_f64 v[137:138], v[184:185], s[16:17], v[202:203]
	v_mul_f64 v[202:203], v[176:177], s[14:15]
	v_add_f64 v[125:126], v[125:126], v[127:128]
	v_add_f64 v[127:128], v[162:163], v[145:146]
	v_mul_f64 v[145:146], v[117:118], s[36:37]
	v_add_f64 v[137:138], v[137:138], v[139:140]
	v_fma_f64 v[139:140], v[190:191], s[38:39], v[204:205]
	v_mul_f64 v[204:205], v[182:183], s[28:29]
	v_mul_f64 v[117:118], v[117:118], s[34:35]
	v_fma_f64 v[162:163], v[44:45], s[4:5], v[145:146]
	v_add_f64 v[139:140], v[139:140], v[200:201]
	v_mul_f64 v[200:201], v[170:171], s[26:27]
	v_add_f64 v[123:124], v[162:163], v[123:124]
	v_fma_f64 v[162:163], v[101:102], s[20:21], v[194:195]
	v_add_f64 v[119:120], v[162:163], v[119:120]
	v_fma_f64 v[162:163], v[129:130], s[6:7], v[196:197]
	v_add_f64 v[123:124], v[162:163], v[123:124]
	v_fma_f64 v[162:163], v[133:134], s[34:35], v[198:199]
	v_add_f64 v[119:120], v[162:163], v[119:120]
	v_fma_f64 v[162:163], v[172:173], s[14:15], v[200:201]
	v_add_f64 v[123:124], v[162:163], v[123:124]
	v_fma_f64 v[162:163], v[178:179], s[30:31], v[202:203]
	v_add_f64 v[119:120], v[162:163], v[119:120]
	v_fma_f64 v[162:163], v[184:185], s[8:9], v[204:205]
	v_add_f64 v[162:163], v[162:163], v[123:124]
	v_mul_f64 v[123:124], v[188:189], s[8:9]
	v_fma_f64 v[164:165], v[190:191], s[22:23], v[123:124]
	v_fma_f64 v[123:124], v[190:191], s[28:29], v[123:124]
	v_add_f64 v[164:165], v[164:165], v[119:120]
	v_fma_f64 v[119:120], v[44:45], s[4:5], -v[145:146]
	v_add_f64 v[115:116], v[119:120], v[115:116]
	v_fma_f64 v[119:120], v[101:102], s[36:37], v[194:195]
	v_add_f64 v[113:114], v[119:120], v[113:114]
	v_fma_f64 v[119:120], v[129:130], s[6:7], -v[196:197]
	v_add_f64 v[115:116], v[119:120], v[115:116]
	;; [unrolled: 4-line block ×4, first 2 shown]
	v_add_f64 v[115:116], v[123:124], v[119:120]
	v_fma_f64 v[119:120], v[44:45], s[6:7], v[117:118]
	v_fma_f64 v[117:118], v[44:45], s[6:7], -v[117:118]
	v_fma_f64 v[44:45], v[44:45], s[8:9], -v[46:47]
	v_add_f64 v[46:47], v[74:75], v[64:65]
	v_add_f64 v[64:65], v[68:69], v[66:67]
	v_fma_f64 v[66:67], v[101:102], s[22:23], v[103:104]
	v_fma_f64 v[68:69], v[129:130], s[4:5], -v[131:132]
	v_add_f64 v[111:112], v[119:120], v[111:112]
	v_mul_f64 v[119:120], v[121:122], s[6:7]
	v_add_f64 v[107:108], v[117:118], v[107:108]
	v_add_f64 v[46:47], v[46:47], v[70:71]
	;; [unrolled: 1-line block ×5, first 2 shown]
	v_fma_f64 v[64:65], v[172:173], s[16:17], -v[174:175]
	v_fma_f64 v[66:67], v[178:179], s[24:25], v[180:181]
	v_fma_f64 v[121:122], v[101:102], s[18:19], v[119:120]
	;; [unrolled: 1-line block ×3, first 2 shown]
	v_add_f64 v[46:47], v[46:47], v[56:57]
	v_add_f64 v[56:57], v[60:61], v[58:59]
	;; [unrolled: 1-line block ×4, first 2 shown]
	v_fma_f64 v[60:61], v[184:185], s[14:15], -v[186:187]
	v_fma_f64 v[62:63], v[190:191], s[26:27], v[192:193]
	v_add_f64 v[109:110], v[121:122], v[109:110]
	v_mul_f64 v[121:122], v[166:167], s[24:25]
	v_add_f64 v[105:106], v[117:118], v[105:106]
	v_add_f64 v[46:47], v[46:47], v[48:49]
	;; [unrolled: 1-line block ×5, first 2 shown]
	v_and_b32_e32 v58, 0xffff, v153
	v_fma_f64 v[123:124], v[129:130], s[16:17], v[121:122]
	v_fma_f64 v[117:118], v[129:130], s[16:17], -v[121:122]
	v_add_f64 v[48:49], v[46:47], v[52:53]
	v_add_f64 v[50:51], v[50:51], v[54:55]
	;; [unrolled: 1-line block ×4, first 2 shown]
	v_mad_u32_u24 v52, 0x420, v58, 0
	v_lshlrev_b32_sdwa v53, v97, v152 dst_sel:DWORD dst_unused:UNUSED_PAD src0_sel:DWORD src1_sel:BYTE_0
	v_add3_u32 v52, v52, v53, v150
	v_add_f64 v[111:112], v[123:124], v[111:112]
	v_mul_f64 v[123:124], v[168:169], s[16:17]
	v_add_f64 v[107:108], v[117:118], v[107:108]
	v_fma_f64 v[145:146], v[133:134], s[38:39], v[123:124]
	v_fma_f64 v[117:118], v[133:134], s[24:25], v[123:124]
	v_add_f64 v[109:110], v[145:146], v[109:110]
	v_mul_f64 v[145:146], v[170:171], s[28:29]
	v_mul_f64 v[170:171], v[182:183], s[20:21]
	v_add_f64 v[105:106], v[117:118], v[105:106]
	v_fma_f64 v[166:167], v[172:173], s[8:9], v[145:146]
	v_fma_f64 v[117:118], v[172:173], s[8:9], -v[145:146]
	v_add_f64 v[111:112], v[166:167], v[111:112]
	v_mul_f64 v[166:167], v[176:177], s[8:9]
	v_mul_f64 v[176:177], v[188:189], s[4:5]
	v_add_f64 v[107:108], v[117:118], v[107:108]
	v_fma_f64 v[168:169], v[178:179], s[22:23], v[166:167]
	v_fma_f64 v[117:118], v[178:179], s[28:29], v[166:167]
	;; [unrolled: 1-line block ×3, first 2 shown]
	v_add_f64 v[168:169], v[168:169], v[109:110]
	v_fma_f64 v[109:110], v[184:185], s[4:5], v[170:171]
	v_add_f64 v[117:118], v[117:118], v[105:106]
	v_fma_f64 v[105:106], v[184:185], s[4:5], -v[170:171]
	v_add_f64 v[109:110], v[109:110], v[111:112]
	v_fma_f64 v[111:112], v[190:191], s[36:37], v[176:177]
	v_add_f64 v[105:106], v[105:106], v[107:108]
	v_add_f64 v[107:108], v[119:120], v[117:118]
	;; [unrolled: 1-line block ×3, first 2 shown]
	ds_write_b128 v52, v[154:157] offset:96
	ds_write_b128 v52, v[158:161] offset:192
	;; [unrolled: 1-line block ×9, first 2 shown]
	ds_write_b128 v52, v[48:51]
	ds_write_b128 v52, v[44:47] offset:960
	s_and_saveexec_b32 s1, s0
	s_cbranch_execz .LBB0_16
; %bb.15:
	v_and_b32_e32 v44, 0xff, v94
	v_mul_lo_u16 v44, 0xab, v44
	v_lshrrev_b16 v51, 10, v44
	v_mul_lo_u16 v44, v51, 6
	v_sub_nc_u16 v50, v94, v44
	v_mul_u32_u24_sdwa v44, v50, v91 dst_sel:DWORD dst_unused:UNUSED_PAD src0_sel:BYTE_0 src1_sel:DWORD
	v_lshlrev_b32_e32 v44, 4, v44
	s_clause 0x9
	global_load_dwordx4 v[52:55], v44, s[12:13] offset:64
	global_load_dwordx4 v[56:59], v44, s[12:13] offset:80
	;; [unrolled: 1-line block ×8, first 2 shown]
	global_load_dwordx4 v[84:87], v44, s[12:13]
	global_load_dwordx4 v[98:101], v44, s[12:13] offset:144
	s_waitcnt vmcnt(9)
	v_mul_f64 v[44:45], v[22:23], v[54:55]
	s_waitcnt vmcnt(8)
	v_mul_f64 v[46:47], v[26:27], v[58:59]
	;; [unrolled: 2-line block ×10, first 2 shown]
	v_mul_f64 v[86:87], v[8:9], v[86:87]
	v_mul_f64 v[100:101], v[40:41], v[100:101]
	;; [unrolled: 1-line block ×10, first 2 shown]
	v_fma_f64 v[44:45], v[20:21], v[52:53], v[44:45]
	v_fma_f64 v[24:25], v[24:25], v[56:57], v[46:47]
	;; [unrolled: 1-line block ×10, first 2 shown]
	v_fma_f64 v[40:41], v[10:11], v[84:85], -v[86:87]
	v_fma_f64 v[8:9], v[42:43], v[98:99], -v[100:101]
	;; [unrolled: 1-line block ×10, first 2 shown]
	v_and_b32_e32 v87, 0xffff, v51
	v_add_f64 v[30:31], v[44:45], -v[24:25]
	v_add_f64 v[71:72], v[44:45], v[24:25]
	v_add_f64 v[38:39], v[46:47], -v[20:21]
	v_add_f64 v[75:76], v[46:47], v[20:21]
	;; [unrolled: 2-line block ×6, first 2 shown]
	v_add_f64 v[40:41], v[2:3], v[40:41]
	v_add_f64 v[48:49], v[0:1], v[48:49]
	v_add_f64 v[69:70], v[28:29], -v[22:23]
	v_add_f64 v[73:74], v[26:27], -v[14:15]
	v_add_f64 v[61:62], v[18:19], v[10:11]
	v_add_f64 v[81:82], v[18:19], -v[10:11]
	v_add_f64 v[67:68], v[34:35], v[6:7]
	;; [unrolled: 2-line block ×3, first 2 shown]
	v_add_f64 v[57:58], v[28:29], v[22:23]
	v_mul_f64 v[85:86], v[30:31], s[20:21]
	v_mul_f64 v[108:109], v[30:31], s[28:29]
	;; [unrolled: 1-line block ×12, first 2 shown]
	v_add_f64 v[34:35], v[40:41], v[34:35]
	v_add_f64 v[36:37], v[48:49], v[36:37]
	v_mul_f64 v[128:129], v[53:54], s[20:21]
	v_mul_f64 v[130:131], v[55:56], s[20:21]
	v_mul_f64 v[138:139], v[53:54], s[22:23]
	v_mul_f64 v[140:141], v[55:56], s[22:23]
	v_mul_f64 v[53:54], v[53:54], s[18:19]
	v_mul_f64 v[55:56], v[55:56], s[18:19]
	v_mul_f64 v[126:127], v[51:52], s[30:31]
	v_mul_f64 v[142:143], v[51:52], s[24:25]
	v_mul_f64 v[51:52], v[51:52], s[22:23]
	v_mul_f64 v[40:41], v[77:78], s[34:35]
	v_mul_f64 v[48:49], v[77:78], s[36:37]
	v_mul_f64 v[166:167], v[77:78], s[30:31]
	v_mul_f64 v[168:169], v[77:78], s[24:25]
	v_mul_f64 v[77:78], v[77:78], s[22:23]
	v_mul_f64 v[120:121], v[30:31], s[24:25]
	v_mul_f64 v[122:123], v[38:39], s[18:19]
	v_mul_f64 v[124:125], v[42:43], s[28:29]
	v_mul_f64 v[132:133], v[30:31], s[34:35]
	v_mul_f64 v[134:135], v[38:39], s[36:37]
	v_mul_f64 v[136:137], v[42:43], s[30:31]
	v_add_f64 v[18:19], v[34:35], v[18:19]
	v_add_f64 v[32:33], v[36:37], v[32:33]
	v_mul_f64 v[30:31], v[30:31], s[26:27]
	v_mul_f64 v[38:39], v[38:39], s[24:25]
	;; [unrolled: 1-line block ×4, first 2 shown]
	v_fma_f64 v[212:213], v[63:64], s[6:7], v[53:54]
	v_fma_f64 v[214:215], v[65:66], s[6:7], -v[55:56]
	v_fma_f64 v[53:54], v[63:64], s[6:7], -v[53:54]
	v_fma_f64 v[55:56], v[65:66], s[6:7], v[55:56]
	v_mul_f64 v[152:153], v[69:70], s[28:29]
	v_mul_f64 v[154:155], v[69:70], s[24:25]
	v_mul_f64 v[156:157], v[69:70], s[34:35]
	v_mul_f64 v[69:70], v[69:70], s[26:27]
	v_mul_f64 v[158:159], v[73:74], s[28:29]
	v_mul_f64 v[160:161], v[73:74], s[26:27]
	v_mul_f64 v[162:163], v[73:74], s[18:19]
	v_mul_f64 v[164:165], v[73:74], s[36:37]
	v_mul_f64 v[73:74], v[73:74], s[24:25]
	v_mul_f64 v[170:171], v[81:82], s[24:25]
	v_mul_f64 v[172:173], v[81:82], s[18:19]
	v_mul_f64 v[174:175], v[81:82], s[28:29]
	v_add_f64 v[18:19], v[18:19], v[26:27]
	v_add_f64 v[26:27], v[32:33], v[46:47]
	v_mul_f64 v[176:177], v[81:82], s[30:31]
	v_mul_f64 v[81:82], v[81:82], s[20:21]
	v_fma_f64 v[184:185], v[63:64], s[14:15], v[104:105]
	v_fma_f64 v[186:187], v[65:66], s[14:15], -v[106:107]
	v_fma_f64 v[104:105], v[63:64], s[14:15], -v[104:105]
	v_fma_f64 v[106:107], v[65:66], s[14:15], v[106:107]
	v_fma_f64 v[194:195], v[63:64], s[16:17], v[116:117]
	v_fma_f64 v[196:197], v[65:66], s[16:17], -v[118:119]
	v_fma_f64 v[116:117], v[63:64], s[16:17], -v[116:117]
	v_fma_f64 v[118:119], v[65:66], s[16:17], v[118:119]
	;; [unrolled: 4-line block ×4, first 2 shown]
	v_fma_f64 v[34:35], v[67:68], s[8:9], -v[51:52]
	v_fma_f64 v[242:243], v[79:80], s[8:9], -v[77:78]
	v_add_f64 v[18:19], v[18:19], v[28:29]
	v_add_f64 v[26:27], v[26:27], v[44:45]
	v_fma_f64 v[77:78], v[79:80], s[8:9], v[77:78]
	v_add_f64 v[53:54], v[2:3], v[53:54]
	v_add_f64 v[55:56], v[0:1], v[55:56]
	v_fma_f64 v[178:179], v[57:58], s[4:5], v[85:86]
	v_fma_f64 v[180:181], v[59:60], s[8:9], v[98:99]
	v_fma_f64 v[182:183], v[61:62], s[16:17], v[100:101]
	v_fma_f64 v[85:86], v[57:58], s[4:5], -v[85:86]
	v_fma_f64 v[98:99], v[59:60], s[8:9], -v[98:99]
	v_fma_f64 v[100:101], v[61:62], s[16:17], -v[100:101]
	v_fma_f64 v[188:189], v[57:58], s[8:9], v[108:109]
	v_fma_f64 v[190:191], v[59:60], s[14:15], v[110:111]
	v_fma_f64 v[192:193], v[61:62], s[6:7], v[112:113]
	v_fma_f64 v[108:109], v[57:58], s[8:9], -v[108:109]
	v_fma_f64 v[110:111], v[59:60], s[14:15], -v[110:111]
	v_fma_f64 v[112:113], v[61:62], s[6:7], -v[112:113]
	;; [unrolled: 6-line block ×4, first 2 shown]
	v_fma_f64 v[218:219], v[57:58], s[14:15], v[30:31]
	v_fma_f64 v[30:31], v[57:58], s[14:15], -v[30:31]
	v_fma_f64 v[57:58], v[59:60], s[16:17], v[38:39]
	v_fma_f64 v[38:39], v[59:60], s[16:17], -v[38:39]
	v_fma_f64 v[59:60], v[61:62], s[4:5], v[42:43]
	v_fma_f64 v[42:43], v[61:62], s[4:5], -v[42:43]
	v_fma_f64 v[61:62], v[67:68], s[6:7], v[102:103]
	v_fma_f64 v[102:103], v[67:68], s[6:7], -v[102:103]
	v_fma_f64 v[220:221], v[67:68], s[4:5], v[114:115]
	v_fma_f64 v[114:115], v[67:68], s[4:5], -v[114:115]
	v_fma_f64 v[222:223], v[67:68], s[14:15], v[126:127]
	v_fma_f64 v[126:127], v[67:68], s[14:15], -v[126:127]
	v_fma_f64 v[224:225], v[67:68], s[16:17], v[142:143]
	v_fma_f64 v[142:143], v[67:68], s[16:17], -v[142:143]
	v_fma_f64 v[226:227], v[67:68], s[8:9], v[51:52]
	v_fma_f64 v[36:37], v[71:72], s[4:5], -v[144:145]
	v_fma_f64 v[51:52], v[71:72], s[4:5], v[144:145]
	v_fma_f64 v[67:68], v[71:72], s[8:9], -v[152:153]
	v_fma_f64 v[144:145], v[71:72], s[8:9], v[152:153]
	v_fma_f64 v[152:153], v[71:72], s[16:17], -v[154:155]
	v_fma_f64 v[154:155], v[71:72], s[16:17], v[154:155]
	v_fma_f64 v[228:229], v[71:72], s[6:7], -v[156:157]
	v_fma_f64 v[156:157], v[71:72], s[6:7], v[156:157]
	v_fma_f64 v[230:231], v[71:72], s[14:15], -v[69:70]
	v_fma_f64 v[69:70], v[71:72], s[14:15], v[69:70]
	v_fma_f64 v[71:72], v[75:76], s[8:9], -v[158:159]
	v_fma_f64 v[158:159], v[75:76], s[8:9], v[158:159]
	v_fma_f64 v[232:233], v[75:76], s[14:15], -v[160:161]
	v_fma_f64 v[160:161], v[75:76], s[14:15], v[160:161]
	v_fma_f64 v[234:235], v[75:76], s[6:7], -v[162:163]
	v_fma_f64 v[162:163], v[75:76], s[6:7], v[162:163]
	v_fma_f64 v[236:237], v[75:76], s[4:5], -v[164:165]
	v_fma_f64 v[164:165], v[75:76], s[4:5], v[164:165]
	v_fma_f64 v[238:239], v[75:76], s[16:17], -v[73:74]
	v_fma_f64 v[32:33], v[75:76], s[16:17], v[73:74]
	v_fma_f64 v[46:47], v[79:80], s[6:7], -v[40:41]
	v_fma_f64 v[40:41], v[79:80], s[6:7], v[40:41]
	v_fma_f64 v[73:74], v[79:80], s[4:5], -v[48:49]
	v_fma_f64 v[48:49], v[79:80], s[4:5], v[48:49]
	v_fma_f64 v[75:76], v[79:80], s[14:15], -v[166:167]
	v_fma_f64 v[166:167], v[79:80], s[14:15], v[166:167]
	v_fma_f64 v[240:241], v[79:80], s[16:17], -v[168:169]
	v_fma_f64 v[168:169], v[79:80], s[16:17], v[168:169]
	v_fma_f64 v[79:80], v[83:84], s[16:17], -v[170:171]
	v_fma_f64 v[170:171], v[83:84], s[16:17], v[170:171]
	v_fma_f64 v[244:245], v[83:84], s[6:7], -v[172:173]
	v_fma_f64 v[172:173], v[83:84], s[6:7], v[172:173]
	v_fma_f64 v[246:247], v[83:84], s[8:9], -v[174:175]
	v_fma_f64 v[174:175], v[83:84], s[8:9], v[174:175]
	v_fma_f64 v[248:249], v[83:84], s[14:15], -v[176:177]
	v_fma_f64 v[176:177], v[83:84], s[14:15], v[176:177]
	v_fma_f64 v[250:251], v[83:84], s[4:5], -v[81:82]
	v_fma_f64 v[28:29], v[83:84], s[4:5], v[81:82]
	v_add_f64 v[44:45], v[2:3], v[184:185]
	v_add_f64 v[81:82], v[0:1], v[186:187]
	;; [unrolled: 1-line block ×108, first 2 shown]
	v_mad_u32_u24 v8, 0x420, v87, 0
	v_lshlrev_b32_sdwa v9, v97, v50 dst_sel:DWORD dst_unused:UNUSED_PAD src0_sel:DWORD src1_sel:BYTE_0
	v_add3_u32 v8, v8, v9, v150
	ds_write_b128 v8, v[30:33] offset:96
	ds_write_b128 v8, v[26:29] offset:192
	;; [unrolled: 1-line block ×9, first 2 shown]
	ds_write_b128 v8, v[42:45]
	ds_write_b128 v8, v[4:7] offset:960
.LBB0_16:
	s_or_b32 exec_lo, exec_lo, s1
	v_and_b32_e32 v0, 0xff, v96
	v_add_nc_u32_e32 v101, 0xc6, v90
	v_mov_b32_e32 v8, 0xf83f
	v_add_nc_u32_e32 v104, 0x108, v90
	v_add_nc_u32_e32 v103, 0x14a, v90
	v_mul_lo_u16 v0, 0xf9, v0
	v_mov_b32_e32 v91, 0
	v_mul_u32_u24_sdwa v1, v101, v8 dst_sel:DWORD dst_unused:UNUSED_PAD src0_sel:WORD_0 src1_sel:DWORD
	v_add_nc_u32_e32 v100, 0x18c, v90
	v_mul_u32_u24_sdwa v116, v104, v8 dst_sel:DWORD dst_unused:UNUSED_PAD src0_sel:WORD_0 src1_sel:DWORD
	v_lshrrev_b16 v0, 14, v0
	v_add_nc_u32_e32 v99, 0x1ce, v90
	v_lshrrev_b32_e32 v1, 22, v1
	v_add_nc_u32_e32 v98, 0x210, v90
	v_mul_u32_u24_sdwa v114, v103, v8 dst_sel:DWORD dst_unused:UNUSED_PAD src0_sel:WORD_0 src1_sel:DWORD
	v_mul_lo_u16 v0, 0x42, v0
	v_lshlrev_b64 v[105:106], 4, v[90:91]
	v_lshrrev_b32_e32 v9, 22, v116
	v_mul_u32_u24_sdwa v10, v100, v8 dst_sel:DWORD dst_unused:UNUSED_PAD src0_sel:WORD_0 src1_sel:DWORD
	v_mul_lo_u16 v1, 0x42, v1
	v_mul_u32_u24_sdwa v12, v99, v8 dst_sel:DWORD dst_unused:UNUSED_PAD src0_sel:WORD_0 src1_sel:DWORD
	v_sub_nc_u16 v2, v96, v0
	v_lshrrev_b32_e32 v11, 22, v114
	v_mul_u32_u24_sdwa v8, v98, v8 dst_sel:DWORD dst_unused:UNUSED_PAD src0_sel:WORD_0 src1_sel:DWORD
	v_add_co_u32 v0, s0, s12, v105
	v_mul_lo_u16 v9, 0x42, v9
	v_lshrrev_b32_e32 v10, 22, v10
	v_sub_nc_u16 v3, v101, v1
	v_add_co_ci_u32_e64 v1, s0, s13, v106, s0
	v_lshrrev_b32_e32 v12, 22, v12
	v_lshlrev_b32_sdwa v108, v97, v2 dst_sel:DWORD dst_unused:UNUSED_PAD src0_sel:DWORD src1_sel:BYTE_0
	v_mul_lo_u16 v11, 0x42, v11
	v_lshrrev_b32_e32 v8, 22, v8
	v_sub_nc_u16 v9, v104, v9
	v_mul_lo_u16 v10, 0x42, v10
	s_waitcnt lgkmcnt(0)
	s_barrier
	buffer_gl0_inv
	v_lshlrev_b32_sdwa v109, v97, v3 dst_sel:DWORD dst_unused:UNUSED_PAD src0_sel:DWORD src1_sel:WORD_0
	s_clause 0x1
	global_load_dwordx4 v[4:7], v[0:1], off offset:960
	global_load_dwordx4 v[0:3], v108, s[12:13] offset:960
	v_mul_lo_u16 v12, 0x42, v12
	v_sub_nc_u16 v11, v103, v11
	v_mul_lo_u16 v8, 0x42, v8
	v_lshlrev_b32_sdwa v115, v97, v9 dst_sel:DWORD dst_unused:UNUSED_PAD src0_sel:DWORD src1_sel:WORD_0
	v_sub_nc_u16 v9, v100, v10
	v_sub_nc_u16 v10, v99, v12
	v_lshlrev_b32_sdwa v110, v97, v11 dst_sel:DWORD dst_unused:UNUSED_PAD src0_sel:DWORD src1_sel:WORD_0
	v_sub_nc_u16 v8, v98, v8
	global_load_dwordx4 v[44:47], v109, s[12:13] offset:960
	v_lshlrev_b32_sdwa v111, v97, v9 dst_sel:DWORD dst_unused:UNUSED_PAD src0_sel:DWORD src1_sel:WORD_0
	s_clause 0x1
	global_load_dwordx4 v[48:51], v115, s[12:13] offset:960
	global_load_dwordx4 v[52:55], v110, s[12:13] offset:960
	v_lshlrev_b32_sdwa v112, v97, v10 dst_sel:DWORD dst_unused:UNUSED_PAD src0_sel:DWORD src1_sel:WORD_0
	v_lshlrev_b32_sdwa v113, v97, v8 dst_sel:DWORD dst_unused:UNUSED_PAD src0_sel:DWORD src1_sel:WORD_0
	s_clause 0x2
	global_load_dwordx4 v[56:59], v111, s[12:13] offset:960
	global_load_dwordx4 v[40:43], v112, s[12:13] offset:960
	;; [unrolled: 1-line block ×3, first 2 shown]
	ds_read_b128 v[60:63], v149 offset:9504
	v_lshlrev_b32_e32 v107, 4, v96
	ds_read_b128 v[76:79], v149 offset:10560
	ds_read_b128 v[64:67], v149 offset:11616
	ds_read_b128 v[32:35], v148
	ds_read_b128 v[12:15], v149 offset:3168
	ds_read_b128 v[80:83], v149 offset:12672
	ds_read_b128 v[68:71], v149 offset:13728
	ds_read_b128 v[24:27], v149 offset:4224
	ds_read_b128 v[16:19], v149 offset:5280
	ds_read_b128 v[84:87], v149 offset:14784
	ds_read_b128 v[72:75], v149 offset:15840
	ds_read_b128 v[28:31], v149 offset:6336
	ds_read_b128 v[20:23], v149 offset:7392
	ds_read_b128 v[8:11], v149 offset:8448
	v_add3_u32 v102, 0, v151, v150
	v_lshlrev_b32_e32 v133, 1, v90
	v_mov_b32_e32 v134, v91
	v_add3_u32 v107, 0, v107, v150
	ds_read_b128 v[117:120], v149 offset:16896
	ds_read_b128 v[121:124], v149 offset:17952
	ds_read_b128 v[125:128], v102
	ds_read_b128 v[129:132], v107
	v_lshlrev_b32_e32 v135, 1, v94
	v_mov_b32_e32 v136, v91
	v_lshlrev_b64 v[133:134], 4, v[133:134]
	v_lshrrev_b32_e32 v116, 23, v116
	v_lshrrev_b32_e32 v114, 23, v114
	s_waitcnt vmcnt(0) lgkmcnt(0)
	v_lshlrev_b64 v[135:136], 4, v[135:136]
	s_barrier
	buffer_gl0_inv
	s_mov_b32 s4, 0xe8584caa
	s_mov_b32 s5, 0xbfebb67a
	;; [unrolled: 1-line block ×4, first 2 shown]
	s_add_u32 s1, s12, 0x49e0
	v_mul_f64 v[137:138], v[62:63], v[6:7]
	v_mul_f64 v[139:140], v[60:61], v[6:7]
	;; [unrolled: 1-line block ×18, first 2 shown]
	v_fma_f64 v[60:61], v[60:61], v[4:5], v[137:138]
	v_fma_f64 v[62:63], v[62:63], v[4:5], -v[139:140]
	v_fma_f64 v[76:77], v[76:77], v[4:5], v[141:142]
	v_fma_f64 v[6:7], v[78:79], v[4:5], -v[6:7]
	;; [unrolled: 2-line block ×3, first 2 shown]
	v_add_co_u32 v38, s0, s12, v133
	v_add_co_ci_u32_e64 v39, s0, s13, v134, s0
	v_fma_f64 v[78:79], v[80:81], v[44:45], v[145:146]
	v_fma_f64 v[46:47], v[82:83], v[44:45], -v[46:47]
	v_fma_f64 v[68:69], v[68:69], v[48:49], v[151:152]
	v_fma_f64 v[50:51], v[70:71], v[48:49], -v[50:51]
	v_fma_f64 v[70:71], v[84:85], v[52:53], v[153:154]
	v_fma_f64 v[54:55], v[86:87], v[52:53], -v[54:55]
	v_fma_f64 v[72:73], v[72:73], v[56:57], v[155:156]
	v_fma_f64 v[58:59], v[74:75], v[56:57], -v[58:59]
	v_fma_f64 v[74:75], v[117:118], v[40:41], v[157:158]
	v_fma_f64 v[80:81], v[119:120], v[40:41], -v[42:43]
	v_fma_f64 v[82:83], v[121:122], v[36:37], v[159:160]
	v_fma_f64 v[84:85], v[123:124], v[36:37], -v[161:162]
	v_add_f64 v[0:1], v[32:33], -v[60:61]
	v_add_f64 v[2:3], v[34:35], -v[62:63]
	;; [unrolled: 1-line block ×6, first 2 shown]
	v_add_co_u32 v36, s0, s12, v135
	v_add_co_ci_u32_e64 v37, s0, s13, v136, s0
	v_add_f64 v[44:45], v[12:13], -v[78:79]
	v_add_f64 v[46:47], v[14:15], -v[46:47]
	;; [unrolled: 1-line block ×12, first 2 shown]
	v_fma_f64 v[32:33], v[32:33], 2.0, -v[0:1]
	v_fma_f64 v[34:35], v[34:35], 2.0, -v[2:3]
	;; [unrolled: 1-line block ×6, first 2 shown]
	v_add3_u32 v76, 0, v108, v150
	v_add3_u32 v77, 0, v109, v150
	;; [unrolled: 1-line block ×4, first 2 shown]
	v_fma_f64 v[12:13], v[12:13], 2.0, -v[44:45]
	v_fma_f64 v[14:15], v[14:15], 2.0, -v[46:47]
	;; [unrolled: 1-line block ×12, first 2 shown]
	v_add3_u32 v80, 0, v111, v150
	v_add3_u32 v81, 0, v112, v150
	;; [unrolled: 1-line block ×3, first 2 shown]
	ds_write_b128 v149, v[0:3] offset:1056
	ds_write_b128 v149, v[4:7] offset:3168
	ds_write_b128 v149, v[32:35]
	ds_write_b128 v149, v[68:71] offset:2112
	ds_write_b128 v76, v[40:43] offset:5280
	ds_write_b128 v77, v[44:47] offset:7392
	ds_write_b128 v78, v[48:51] offset:9504
	ds_write_b128 v79, v[52:55] offset:11616
	ds_write_b128 v80, v[56:59] offset:13728
	ds_write_b128 v81, v[60:63] offset:15840
	ds_write_b128 v82, v[64:67] offset:17952
	ds_write_b128 v76, v[72:75] offset:4224
	ds_write_b128 v77, v[12:15] offset:6336
	ds_write_b128 v78, v[24:27] offset:8448
	ds_write_b128 v79, v[16:19] offset:10560
	ds_write_b128 v80, v[28:31] offset:12672
	ds_write_b128 v81, v[20:23] offset:14784
	ds_write_b128 v82, v[8:11] offset:16896
	v_mul_lo_u16 v16, 0x84, v116
	s_waitcnt lgkmcnt(0)
	s_barrier
	buffer_gl0_inv
	s_clause 0x1
	global_load_dwordx4 v[0:3], v[38:39], off offset:2032
	global_load_dwordx4 v[8:11], v[38:39], off offset:2016
	v_mul_lo_u16 v18, 0x84, v114
	s_clause 0x1
	global_load_dwordx4 v[4:7], v[36:37], off offset:2032
	global_load_dwordx4 v[12:15], v[36:37], off offset:2016
	v_mov_b32_e32 v17, 5
	v_sub_nc_u16 v33, v104, v16
	v_lshlrev_b32_e32 v34, 1, v96
	v_sub_nc_u16 v32, v103, v18
	v_mov_b32_e32 v35, v91
	v_lshlrev_b32_e32 v40, 1, v101
	v_lshlrev_b32_sdwa v16, v17, v33 dst_sel:DWORD dst_unused:UNUSED_PAD src0_sel:DWORD src1_sel:WORD_0
	v_mov_b32_e32 v41, v91
	v_lshlrev_b32_sdwa v24, v17, v32 dst_sel:DWORD dst_unused:UNUSED_PAD src0_sel:DWORD src1_sel:WORD_0
	s_clause 0x3
	global_load_dwordx4 v[20:23], v16, s[12:13] offset:2016
	global_load_dwordx4 v[16:19], v16, s[12:13] offset:2032
	global_load_dwordx4 v[28:31], v24, s[12:13] offset:2016
	global_load_dwordx4 v[24:27], v24, s[12:13] offset:2032
	v_lshlrev_b64 v[34:35], 4, v[34:35]
	v_lshlrev_b32_e32 v42, 1, v104
	v_mov_b32_e32 v43, v91
	v_lshlrev_b64 v[40:41], 4, v[40:41]
	v_lshlrev_b32_e32 v44, 1, v103
	v_mov_b32_e32 v45, v91
	v_add_co_u32 v34, s0, s12, v34
	v_lshlrev_b64 v[42:43], 4, v[42:43]
	v_add_co_ci_u32_e64 v35, s0, s13, v35, s0
	v_lshlrev_b64 v[44:45], 4, v[44:45]
	v_add_co_u32 v40, s0, s12, v40
	v_add_co_ci_u32_e64 v41, s0, s13, v41, s0
	v_add_co_u32 v87, s0, s12, v42
	v_add_co_ci_u32_e64 v91, s0, s13, v43, s0
	;; [unrolled: 2-line block ×11, first 2 shown]
	v_lshlrev_b32_sdwa v41, v97, v33 dst_sel:DWORD dst_unused:UNUSED_PAD src0_sel:DWORD src1_sel:WORD_0
	ds_read_b128 v[33:36], v149 offset:6336
	ds_read_b128 v[37:40], v149 offset:12672
	v_lshlrev_b32_sdwa v97, v97, v32 dst_sel:DWORD dst_unused:UNUSED_PAD src0_sel:DWORD src1_sel:WORD_0
	v_add_co_u32 v142, s0, 0x1860, v87
	v_add3_u32 v182, 0, v41, v150
	ds_read_b128 v[41:44], v149 offset:7392
	ds_read_b128 v[45:48], v149 offset:13728
	ds_read_b128 v[49:52], v102
	ds_read_b128 v[53:56], v107
	ds_read_b128 v[57:60], v149 offset:8448
	ds_read_b128 v[61:64], v149 offset:14784
	ds_read_b128 v[65:68], v148
	ds_read_b128 v[69:72], v149 offset:3168
	ds_read_b128 v[73:76], v149 offset:9504
	;; [unrolled: 1-line block ×9, first 2 shown]
	s_waitcnt vmcnt(0) lgkmcnt(0)
	s_barrier
	buffer_gl0_inv
	v_add_co_ci_u32_e64 v143, s0, 0, v91, s0
	v_mul_f64 v[153:154], v[39:40], v[2:3]
	v_mul_f64 v[144:145], v[35:36], v[10:11]
	v_mul_f64 v[151:152], v[33:34], v[10:11]
	v_mul_f64 v[155:156], v[37:38], v[2:3]
	v_mul_f64 v[157:158], v[43:44], v[14:15]
	v_mul_f64 v[159:160], v[41:42], v[14:15]
	v_mul_f64 v[161:162], v[47:48], v[6:7]
	v_mul_f64 v[163:164], v[45:46], v[6:7]
	v_mul_f64 v[165:166], v[59:60], v[10:11]
	v_mul_f64 v[10:11], v[57:58], v[10:11]
	v_mul_f64 v[167:168], v[63:64], v[2:3]
	v_mul_f64 v[2:3], v[61:62], v[2:3]
	v_mul_f64 v[169:170], v[75:76], v[14:15]
	v_mul_f64 v[14:15], v[73:74], v[14:15]
	v_mul_f64 v[171:172], v[79:80], v[6:7]
	v_mul_f64 v[6:7], v[77:78], v[6:7]
	v_mul_f64 v[173:174], v[114:115], v[22:23]
	v_mul_f64 v[22:23], v[112:113], v[22:23]
	v_mul_f64 v[175:176], v[122:123], v[18:19]
	v_mul_f64 v[18:19], v[120:121], v[18:19]
	v_mul_f64 v[177:178], v[118:119], v[30:31]
	v_mul_f64 v[30:31], v[116:117], v[30:31]
	v_mul_f64 v[179:180], v[126:127], v[26:27]
	v_mul_f64 v[26:27], v[124:125], v[26:27]
	v_fma_f64 v[32:33], v[33:34], v[8:9], v[144:145]
	v_fma_f64 v[34:35], v[35:36], v[8:9], -v[151:152]
	v_fma_f64 v[36:37], v[37:38], v[0:1], v[153:154]
	v_fma_f64 v[38:39], v[39:40], v[0:1], -v[155:156]
	;; [unrolled: 2-line block ×12, first 2 shown]
	v_add_f64 v[26:27], v[65:66], v[32:33]
	v_add_f64 v[30:31], v[32:33], v[36:37]
	v_add_f64 v[61:62], v[34:35], -v[38:39]
	v_add_f64 v[63:64], v[67:68], v[34:35]
	v_add_f64 v[34:35], v[34:35], v[38:39]
	;; [unrolled: 1-line block ×3, first 2 shown]
	v_add_f64 v[77:78], v[42:43], -v[46:47]
	v_add_f64 v[79:80], v[51:52], v[42:43]
	v_add_f64 v[42:43], v[42:43], v[46:47]
	v_add_f64 v[114:115], v[57:58], v[10:11]
	v_add_f64 v[120:121], v[8:9], v[59:60]
	v_add_f64 v[112:113], v[53:54], v[57:58]
	v_add_f64 v[124:125], v[0:1], v[12:13]
	v_add_f64 v[151:152], v[2:3], v[14:15]
	v_add_f64 v[118:119], v[55:56], v[8:9]
	v_add_f64 v[32:33], v[32:33], -v[36:37]
	v_add_f64 v[157:158], v[4:5], v[20:21]
	v_add_f64 v[163:164], v[6:7], v[18:19]
	;; [unrolled: 1-line block ×3, first 2 shown]
	v_add_f64 v[153:154], v[0:1], -v[12:13]
	v_add_f64 v[169:170], v[16:17], v[28:29]
	v_add_f64 v[175:176], v[22:23], v[24:25]
	;; [unrolled: 1-line block ×6, first 2 shown]
	v_fma_f64 v[26:27], v[30:31], -0.5, v[65:66]
	v_fma_f64 v[30:31], v[34:35], -0.5, v[67:68]
	v_add_f64 v[73:74], v[49:50], v[40:41]
	v_add_f64 v[40:41], v[40:41], -v[44:45]
	v_add_f64 v[126:127], v[2:3], -v[14:15]
	v_add_f64 v[144:145], v[71:72], v[2:3]
	v_add_f64 v[2:3], v[63:64], v[38:39]
	v_fma_f64 v[34:35], v[75:76], -0.5, v[49:50]
	v_fma_f64 v[38:39], v[42:43], -0.5, v[51:52]
	v_add_f64 v[116:117], v[8:9], -v[59:60]
	v_add_f64 v[57:58], v[57:58], -v[10:11]
	;; [unrolled: 1-line block ×3, first 2 shown]
	v_add_f64 v[161:162], v[83:84], v[6:7]
	v_add_f64 v[6:7], v[79:80], v[46:47]
	v_fma_f64 v[42:43], v[114:115], -0.5, v[53:54]
	v_fma_f64 v[46:47], v[120:121], -0.5, v[55:56]
	;; [unrolled: 1-line block ×4, first 2 shown]
	v_add_f64 v[165:166], v[4:5], -v[20:21]
	v_add_f64 v[8:9], v[112:113], v[10:11]
	v_add_f64 v[10:11], v[118:119], v[59:60]
	v_fma_f64 v[59:60], v[157:158], -0.5, v[81:82]
	v_fma_f64 v[63:64], v[163:164], -0.5, v[83:84]
	v_add_f64 v[171:172], v[22:23], -v[24:25]
	v_add_f64 v[177:178], v[16:17], -v[28:29]
	v_fma_f64 v[66:67], v[169:170], -0.5, v[108:109]
	v_fma_f64 v[70:71], v[175:176], -0.5, v[110:111]
	v_add_f64 v[16:17], v[155:156], v[20:21]
	v_add_f64 v[20:21], v[167:168], v[28:29]
	;; [unrolled: 1-line block ×3, first 2 shown]
	v_fma_f64 v[24:25], v[61:62], s[4:5], v[26:27]
	v_fma_f64 v[28:29], v[61:62], s[6:7], v[26:27]
	;; [unrolled: 1-line block ×4, first 2 shown]
	v_add_f64 v[4:5], v[73:74], v[44:45]
	v_fma_f64 v[32:33], v[77:78], s[4:5], v[34:35]
	v_fma_f64 v[36:37], v[77:78], s[6:7], v[34:35]
	;; [unrolled: 1-line block ×8, first 2 shown]
	v_add_f64 v[12:13], v[122:123], v[12:13]
	v_add_f64 v[14:15], v[144:145], v[14:15]
	v_fma_f64 v[48:49], v[126:127], s[4:5], v[50:51]
	v_fma_f64 v[52:53], v[126:127], s[6:7], v[50:51]
	;; [unrolled: 1-line block ×4, first 2 shown]
	v_add_f64 v[18:19], v[161:162], v[18:19]
	v_fma_f64 v[56:57], v[159:160], s[4:5], v[59:60]
	v_fma_f64 v[60:61], v[159:160], s[6:7], v[59:60]
	;; [unrolled: 1-line block ×8, first 2 shown]
	v_add3_u32 v72, 0, v97, v150
	ds_write_b128 v149, v[0:3]
	ds_write_b128 v149, v[24:27] offset:2112
	ds_write_b128 v149, v[28:31] offset:4224
	ds_write_b128 v102, v[4:7]
	ds_write_b128 v102, v[32:35] offset:2112
	ds_write_b128 v102, v[36:39] offset:4224
	;; [unrolled: 1-line block ×14, first 2 shown]
	s_waitcnt lgkmcnt(0)
	s_barrier
	buffer_gl0_inv
	global_load_dwordx4 v[0:3], v[128:129], off offset:96
	v_add_co_u32 v32, s0, 0x1800, v87
	s_clause 0x3
	global_load_dwordx4 v[4:7], v[85:86], off offset:16
	global_load_dwordx4 v[8:11], v[132:133], off offset:96
	;; [unrolled: 1-line block ×4, first 2 shown]
	v_add_co_ci_u32_e64 v33, s0, 0, v91, s0
	v_add_co_u32 v40, s0, 0x1800, v146
	v_add_co_ci_u32_e64 v41, s0, 0, v181, s0
	s_clause 0x3
	global_load_dwordx4 v[20:23], v[134:135], off offset:16
	global_load_dwordx4 v[24:27], v[140:141], off offset:96
	;; [unrolled: 1-line block ×4, first 2 shown]
	v_add_co_u32 v44, s0, 0x1860, v146
	v_add_co_ci_u32_e64 v45, s0, 0, v181, s0
	s_clause 0x2
	global_load_dwordx4 v[36:39], v[142:143], off offset:16
	global_load_dwordx4 v[40:43], v[40:41], off offset:96
	;; [unrolled: 1-line block ×3, first 2 shown]
	ds_read_b128 v[48:51], v149 offset:6336
	ds_read_b128 v[52:55], v149 offset:12672
	;; [unrolled: 1-line block ×4, first 2 shown]
	ds_read_b128 v[64:67], v102
	ds_read_b128 v[68:71], v107
	ds_read_b128 v[72:75], v149 offset:8448
	ds_read_b128 v[76:79], v149 offset:14784
	ds_read_b128 v[80:83], v148
	ds_read_b128 v[84:87], v149 offset:3168
	ds_read_b128 v[108:111], v149 offset:9504
	;; [unrolled: 1-line block ×9, first 2 shown]
	s_waitcnt vmcnt(0) lgkmcnt(0)
	s_barrier
	buffer_gl0_inv
	v_mul_f64 v[142:143], v[54:55], v[6:7]
	v_mul_f64 v[140:141], v[50:51], v[2:3]
	;; [unrolled: 1-line block ×24, first 2 shown]
	v_fma_f64 v[48:49], v[48:49], v[0:1], v[140:141]
	v_fma_f64 v[0:1], v[50:51], v[0:1], -v[2:3]
	v_fma_f64 v[2:3], v[52:53], v[4:5], v[142:143]
	v_fma_f64 v[4:5], v[54:55], v[4:5], -v[6:7]
	;; [unrolled: 2-line block ×12, first 2 shown]
	v_add_f64 v[46:47], v[80:81], v[48:49]
	v_add_f64 v[50:51], v[48:49], v[2:3]
	;; [unrolled: 1-line block ×5, first 2 shown]
	v_add_f64 v[62:63], v[8:9], -v[12:13]
	v_add_f64 v[72:73], v[66:67], v[8:9]
	v_add_f64 v[8:9], v[8:9], v[12:13]
	v_add_f64 v[58:59], v[64:65], v[6:7]
	v_add_f64 v[78:79], v[14:15], v[18:19]
	v_add_f64 v[108:109], v[16:17], -v[20:21]
	v_add_f64 v[110:111], v[70:71], v[16:17]
	v_add_f64 v[16:17], v[16:17], v[20:21]
	v_add_f64 v[114:115], v[22:23], v[26:27]
	v_add_f64 v[124:125], v[24:25], -v[28:29]
	v_add_f64 v[126:127], v[86:87], v[24:25]
	v_add_f64 v[24:25], v[24:25], v[28:29]
	v_add_f64 v[130:131], v[30:31], v[34:35]
	;; [unrolled: 4-line block ×3, first 2 shown]
	v_add_f64 v[140:141], v[40:41], -v[44:45]
	v_add_f64 v[142:143], v[122:123], v[40:41]
	v_add_f64 v[40:41], v[40:41], v[44:45]
	v_add_f64 v[52:53], v[0:1], -v[4:5]
	v_add_f64 v[48:49], v[48:49], -v[2:3]
	v_add_f64 v[76:77], v[68:69], v[14:15]
	v_add_f64 v[112:113], v[14:15], -v[18:19]
	v_add_f64 v[14:15], v[84:85], v[22:23]
	;; [unrolled: 2-line block ×5, first 2 shown]
	v_fma_f64 v[38:39], v[50:51], -0.5, v[80:81]
	v_fma_f64 v[46:47], v[56:57], -0.5, v[82:83]
	v_add_f64 v[74:75], v[6:7], -v[10:11]
	v_add_f64 v[2:3], v[54:55], v[4:5]
	v_fma_f64 v[50:51], v[60:61], -0.5, v[64:65]
	v_fma_f64 v[54:55], v[8:9], -0.5, v[66:67]
	v_add_f64 v[4:5], v[58:59], v[10:11]
	v_fma_f64 v[56:57], v[78:79], -0.5, v[68:69]
	v_fma_f64 v[58:59], v[16:17], -0.5, v[70:71]
	;; [unrolled: 1-line block ×6, first 2 shown]
	v_add_f64 v[6:7], v[72:73], v[12:13]
	v_fma_f64 v[70:71], v[138:139], -0.5, v[120:121]
	v_fma_f64 v[72:73], v[40:41], -0.5, v[122:123]
	v_add_f64 v[12:13], v[14:15], v[26:27]
	v_add_f64 v[10:11], v[110:111], v[20:21]
	;; [unrolled: 1-line block ×6, first 2 shown]
	v_fma_f64 v[24:25], v[52:53], s[4:5], v[38:39]
	v_fma_f64 v[26:27], v[48:49], s[6:7], v[46:47]
	;; [unrolled: 1-line block ×6, first 2 shown]
	v_add_f64 v[18:19], v[134:135], v[36:37]
	v_fma_f64 v[36:37], v[62:63], s[6:7], v[50:51]
	v_fma_f64 v[38:39], v[74:75], s[4:5], v[54:55]
	;; [unrolled: 1-line block ×4, first 2 shown]
	v_add_f64 v[22:23], v[142:143], v[44:45]
	v_fma_f64 v[44:45], v[108:109], s[6:7], v[56:57]
	v_fma_f64 v[46:47], v[112:113], s[4:5], v[58:59]
	;; [unrolled: 1-line block ×14, first 2 shown]
	ds_write_b128 v149, v[0:3]
	ds_write_b128 v149, v[24:27] offset:6336
	ds_write_b128 v149, v[28:31] offset:12672
	ds_write_b128 v102, v[4:7]
	ds_write_b128 v102, v[32:35] offset:6336
	ds_write_b128 v102, v[36:39] offset:12672
	;; [unrolled: 3-line block ×3, first 2 shown]
	ds_write_b128 v149, v[12:15] offset:3168
	ds_write_b128 v149, v[48:51] offset:9504
	;; [unrolled: 1-line block ×9, first 2 shown]
	s_waitcnt lgkmcnt(0)
	s_barrier
	buffer_gl0_inv
	ds_read_b128 v[4:7], v148
	v_sub_nc_u32_e32 v12, v147, v95
	s_addc_u32 s4, s13, 0
	s_mov_b32 s5, exec_lo
                                        ; implicit-def: $vgpr0_vgpr1
                                        ; implicit-def: $vgpr8_vgpr9
                                        ; implicit-def: $vgpr10_vgpr11
	v_cmpx_ne_u32_e32 0, v90
	s_xor_b32 s5, exec_lo, s5
	s_cbranch_execz .LBB0_18
; %bb.17:
	v_add_co_u32 v0, s0, s1, v105
	v_add_co_ci_u32_e64 v1, s0, s4, v106, s0
	global_load_dwordx4 v[13:16], v[0:1], off
	ds_read_b128 v[0:3], v12 offset:19008
	s_waitcnt lgkmcnt(0)
	v_add_f64 v[8:9], v[4:5], -v[0:1]
	v_add_f64 v[10:11], v[6:7], v[2:3]
	v_add_f64 v[2:3], v[6:7], -v[2:3]
	v_add_f64 v[0:1], v[4:5], v[0:1]
	v_mul_f64 v[6:7], v[8:9], 0.5
	v_mul_f64 v[4:5], v[10:11], 0.5
	;; [unrolled: 1-line block ×3, first 2 shown]
	s_waitcnt vmcnt(0)
	v_mul_f64 v[8:9], v[6:7], v[15:16]
	v_fma_f64 v[10:11], v[4:5], v[15:16], v[2:3]
	v_fma_f64 v[2:3], v[4:5], v[15:16], -v[2:3]
	v_fma_f64 v[17:18], v[0:1], 0.5, v[8:9]
	v_fma_f64 v[0:1], v[0:1], 0.5, -v[8:9]
	v_fma_f64 v[10:11], -v[13:14], v[6:7], v[10:11]
	v_fma_f64 v[2:3], -v[13:14], v[6:7], v[2:3]
	v_fma_f64 v[8:9], v[4:5], v[13:14], v[17:18]
	v_fma_f64 v[0:1], -v[4:5], v[13:14], v[0:1]
                                        ; implicit-def: $vgpr4_vgpr5
.LBB0_18:
	s_andn2_saveexec_b32 s0, s5
	s_cbranch_execz .LBB0_20
; %bb.19:
	ds_read_b64 v[13:14], v147 offset:9512
	s_waitcnt lgkmcnt(1)
	v_add_f64 v[8:9], v[4:5], v[6:7]
	v_add_f64 v[0:1], v[4:5], -v[6:7]
	v_mov_b32_e32 v10, 0
	v_mov_b32_e32 v11, 0
	;; [unrolled: 1-line block ×4, first 2 shown]
	s_waitcnt lgkmcnt(0)
	v_xor_b32_e32 v14, 0x80000000, v14
	ds_write_b64 v147, v[13:14] offset:9512
.LBB0_20:
	s_or_b32 exec_lo, exec_lo, s0
	v_mov_b32_e32 v95, 0
	v_lshl_add_u32 v25, v94, 4, v147
	ds_write2_b64 v148, v[8:9], v[10:11] offset1:1
	ds_write_b128 v12, v[0:3] offset:19008
	v_lshl_add_u32 v26, v96, 4, v147
	s_waitcnt lgkmcnt(2)
	v_lshlrev_b64 v[4:5], 4, v[94:95]
	v_mov_b32_e32 v97, v95
	v_mov_b32_e32 v102, v95
	;; [unrolled: 1-line block ×3, first 2 shown]
	v_lshlrev_b64 v[13:14], 4, v[96:97]
	v_add_co_u32 v4, s0, s1, v4
	v_add_co_ci_u32_e64 v5, s0, s4, v5, s0
	v_lshlrev_b64 v[17:18], 4, v[101:102]
	v_add_co_u32 v13, s0, s1, v13
	global_load_dwordx4 v[4:7], v[4:5], off
	v_add_co_ci_u32_e64 v14, s0, s4, v14, s0
	v_add_co_u32 v17, s0, s1, v17
	v_add_co_ci_u32_e64 v18, s0, s4, v18, s0
	global_load_dwordx4 v[13:16], v[13:14], off
	ds_read_b128 v[0:3], v25
	ds_read_b128 v[8:11], v12 offset:17952
	v_mov_b32_e32 v101, v95
	global_load_dwordx4 v[17:20], v[17:18], off
	s_waitcnt lgkmcnt(0)
	v_add_f64 v[21:22], v[0:1], -v[8:9]
	v_add_f64 v[23:24], v[2:3], v[10:11]
	v_add_f64 v[2:3], v[2:3], -v[10:11]
	v_add_f64 v[0:1], v[0:1], v[8:9]
	v_mul_f64 v[10:11], v[21:22], 0.5
	v_mul_f64 v[21:22], v[23:24], 0.5
	;; [unrolled: 1-line block ×3, first 2 shown]
	s_waitcnt vmcnt(2)
	v_mul_f64 v[8:9], v[10:11], v[6:7]
	v_fma_f64 v[23:24], v[21:22], v[6:7], v[2:3]
	v_fma_f64 v[2:3], v[21:22], v[6:7], -v[2:3]
	v_fma_f64 v[6:7], v[0:1], 0.5, v[8:9]
	v_fma_f64 v[0:1], v[0:1], 0.5, -v[8:9]
	v_fma_f64 v[8:9], -v[4:5], v[10:11], v[23:24]
	v_fma_f64 v[2:3], -v[4:5], v[10:11], v[2:3]
	v_lshlrev_b64 v[10:11], 4, v[104:105]
	v_mov_b32_e32 v104, v95
	v_fma_f64 v[6:7], v[21:22], v[4:5], v[6:7]
	v_fma_f64 v[0:1], -v[21:22], v[4:5], v[0:1]
	ds_write2_b64 v25, v[6:7], v[8:9] offset1:1
	ds_write_b128 v12, v[0:3] offset:17952
	v_add_co_u32 v8, s0, s1, v10
	ds_read_b128 v[0:3], v26
	ds_read_b128 v[4:7], v12 offset:16896
	v_add_co_ci_u32_e64 v9, s0, s4, v11, s0
	v_add_nc_u32_e32 v25, 0x1000, v148
	global_load_dwordx4 v[8:11], v[8:9], off
	s_waitcnt lgkmcnt(0)
	v_add_f64 v[21:22], v[0:1], -v[4:5]
	v_add_f64 v[23:24], v[2:3], v[6:7]
	v_add_f64 v[2:3], v[2:3], -v[6:7]
	v_add_f64 v[0:1], v[0:1], v[4:5]
	v_mul_f64 v[6:7], v[21:22], 0.5
	v_mul_f64 v[21:22], v[23:24], 0.5
	;; [unrolled: 1-line block ×3, first 2 shown]
	s_waitcnt vmcnt(2)
	v_mul_f64 v[4:5], v[6:7], v[15:16]
	v_fma_f64 v[23:24], v[21:22], v[15:16], v[2:3]
	v_fma_f64 v[2:3], v[21:22], v[15:16], -v[2:3]
	v_fma_f64 v[15:16], v[0:1], 0.5, v[4:5]
	v_fma_f64 v[0:1], v[0:1], 0.5, -v[4:5]
	v_fma_f64 v[4:5], -v[13:14], v[6:7], v[23:24]
	v_fma_f64 v[2:3], -v[13:14], v[6:7], v[2:3]
	v_fma_f64 v[6:7], v[21:22], v[13:14], v[15:16]
	v_fma_f64 v[0:1], -v[21:22], v[13:14], v[0:1]
	v_lshlrev_b64 v[13:14], 4, v[103:104]
	ds_write2_b64 v26, v[6:7], v[4:5] offset1:1
	ds_write_b128 v12, v[0:3] offset:16896
	v_add_co_u32 v13, s0, s1, v13
	ds_read_b128 v[0:3], v148 offset:3168
	ds_read_b128 v[4:7], v12 offset:15840
	v_add_co_ci_u32_e64 v14, s0, s4, v14, s0
	global_load_dwordx4 v[13:16], v[13:14], off
	s_waitcnt lgkmcnt(0)
	v_add_f64 v[21:22], v[0:1], -v[4:5]
	v_add_f64 v[23:24], v[2:3], v[6:7]
	v_add_f64 v[2:3], v[2:3], -v[6:7]
	v_add_f64 v[0:1], v[0:1], v[4:5]
	v_mul_f64 v[6:7], v[21:22], 0.5
	v_mul_f64 v[21:22], v[23:24], 0.5
	;; [unrolled: 1-line block ×3, first 2 shown]
	s_waitcnt vmcnt(2)
	v_mul_f64 v[4:5], v[6:7], v[19:20]
	v_fma_f64 v[23:24], v[21:22], v[19:20], v[2:3]
	v_fma_f64 v[2:3], v[21:22], v[19:20], -v[2:3]
	v_fma_f64 v[19:20], v[0:1], 0.5, v[4:5]
	v_fma_f64 v[0:1], v[0:1], 0.5, -v[4:5]
	v_fma_f64 v[4:5], -v[17:18], v[6:7], v[23:24]
	v_fma_f64 v[2:3], -v[17:18], v[6:7], v[2:3]
	v_fma_f64 v[6:7], v[21:22], v[17:18], v[19:20]
	v_fma_f64 v[0:1], -v[21:22], v[17:18], v[0:1]
	v_lshlrev_b64 v[17:18], 4, v[100:101]
	v_add_nc_u32_e32 v19, 0x800, v148
	v_mov_b32_e32 v100, v95
	ds_write2_b64 v19, v[6:7], v[4:5] offset0:140 offset1:141
	ds_write_b128 v12, v[0:3] offset:15840
	v_add_co_u32 v17, s0, s1, v17
	ds_read_b128 v[0:3], v148 offset:4224
	ds_read_b128 v[4:7], v12 offset:14784
	v_add_co_ci_u32_e64 v18, s0, s4, v18, s0
	global_load_dwordx4 v[17:20], v[17:18], off
	s_waitcnt lgkmcnt(0)
	v_add_f64 v[21:22], v[0:1], -v[4:5]
	v_add_f64 v[23:24], v[2:3], v[6:7]
	v_add_f64 v[2:3], v[2:3], -v[6:7]
	v_add_f64 v[0:1], v[0:1], v[4:5]
	v_mul_f64 v[6:7], v[21:22], 0.5
	v_mul_f64 v[21:22], v[23:24], 0.5
	;; [unrolled: 1-line block ×3, first 2 shown]
	s_waitcnt vmcnt(2)
	v_mul_f64 v[4:5], v[6:7], v[10:11]
	v_fma_f64 v[23:24], v[21:22], v[10:11], v[2:3]
	v_fma_f64 v[2:3], v[21:22], v[10:11], -v[2:3]
	v_fma_f64 v[10:11], v[0:1], 0.5, v[4:5]
	v_fma_f64 v[0:1], v[0:1], 0.5, -v[4:5]
	v_fma_f64 v[4:5], -v[8:9], v[6:7], v[23:24]
	v_fma_f64 v[2:3], -v[8:9], v[6:7], v[2:3]
	v_fma_f64 v[6:7], v[21:22], v[8:9], v[10:11]
	v_fma_f64 v[0:1], -v[21:22], v[8:9], v[0:1]
	v_lshlrev_b64 v[8:9], 4, v[99:100]
	v_mov_b32_e32 v99, v95
	ds_write2_b64 v25, v[6:7], v[4:5] offset0:16 offset1:17
	ds_write_b128 v12, v[0:3] offset:14784
	v_add_co_u32 v8, s0, s1, v8
	ds_read_b128 v[0:3], v148 offset:5280
	ds_read_b128 v[4:7], v12 offset:13728
	v_add_co_ci_u32_e64 v9, s0, s4, v9, s0
	global_load_dwordx4 v[8:11], v[8:9], off
	s_waitcnt lgkmcnt(0)
	v_add_f64 v[21:22], v[0:1], -v[4:5]
	v_add_f64 v[23:24], v[2:3], v[6:7]
	v_add_f64 v[2:3], v[2:3], -v[6:7]
	v_add_f64 v[0:1], v[0:1], v[4:5]
	v_mul_f64 v[6:7], v[21:22], 0.5
	v_mul_f64 v[21:22], v[23:24], 0.5
	;; [unrolled: 1-line block ×3, first 2 shown]
	s_waitcnt vmcnt(2)
	v_mul_f64 v[4:5], v[6:7], v[15:16]
	v_fma_f64 v[23:24], v[21:22], v[15:16], v[2:3]
	v_fma_f64 v[2:3], v[21:22], v[15:16], -v[2:3]
	v_fma_f64 v[15:16], v[0:1], 0.5, v[4:5]
	v_fma_f64 v[0:1], v[0:1], 0.5, -v[4:5]
	v_fma_f64 v[4:5], -v[13:14], v[6:7], v[23:24]
	v_fma_f64 v[2:3], -v[13:14], v[6:7], v[2:3]
	v_fma_f64 v[6:7], v[21:22], v[13:14], v[15:16]
	v_fma_f64 v[0:1], -v[21:22], v[13:14], v[0:1]
	v_lshlrev_b64 v[13:14], 4, v[98:99]
	ds_write2_b64 v25, v[6:7], v[4:5] offset0:148 offset1:149
	ds_write_b128 v12, v[0:3] offset:13728
	v_add_co_u32 v13, s0, s1, v13
	ds_read_b128 v[0:3], v148 offset:6336
	ds_read_b128 v[4:7], v12 offset:12672
	v_add_co_ci_u32_e64 v14, s0, s4, v14, s0
	global_load_dwordx4 v[13:16], v[13:14], off
	s_waitcnt lgkmcnt(0)
	v_add_f64 v[21:22], v[0:1], -v[4:5]
	v_add_f64 v[23:24], v[2:3], v[6:7]
	v_add_f64 v[2:3], v[2:3], -v[6:7]
	v_add_f64 v[0:1], v[0:1], v[4:5]
	v_mul_f64 v[6:7], v[21:22], 0.5
	v_mul_f64 v[21:22], v[23:24], 0.5
	;; [unrolled: 1-line block ×3, first 2 shown]
	s_waitcnt vmcnt(2)
	v_mul_f64 v[4:5], v[6:7], v[19:20]
	v_fma_f64 v[23:24], v[21:22], v[19:20], v[2:3]
	v_fma_f64 v[2:3], v[21:22], v[19:20], -v[2:3]
	v_fma_f64 v[19:20], v[0:1], 0.5, v[4:5]
	v_fma_f64 v[0:1], v[0:1], 0.5, -v[4:5]
	v_fma_f64 v[4:5], -v[17:18], v[6:7], v[23:24]
	v_fma_f64 v[2:3], -v[17:18], v[6:7], v[2:3]
	v_fma_f64 v[6:7], v[21:22], v[17:18], v[19:20]
	v_fma_f64 v[0:1], -v[21:22], v[17:18], v[0:1]
	v_add_nc_u32_e32 v21, 0x1800, v148
	ds_write2_b64 v21, v[6:7], v[4:5] offset0:24 offset1:25
	ds_write_b128 v12, v[0:3] offset:12672
	ds_read_b128 v[0:3], v148 offset:7392
	ds_read_b128 v[4:7], v12 offset:11616
	s_waitcnt lgkmcnt(0)
	v_add_f64 v[17:18], v[0:1], -v[4:5]
	v_add_f64 v[19:20], v[2:3], v[6:7]
	v_add_f64 v[2:3], v[2:3], -v[6:7]
	v_add_f64 v[0:1], v[0:1], v[4:5]
	v_mul_f64 v[6:7], v[17:18], 0.5
	v_mul_f64 v[17:18], v[19:20], 0.5
	;; [unrolled: 1-line block ×3, first 2 shown]
	s_waitcnt vmcnt(1)
	v_mul_f64 v[4:5], v[6:7], v[10:11]
	v_fma_f64 v[19:20], v[17:18], v[10:11], v[2:3]
	v_fma_f64 v[2:3], v[17:18], v[10:11], -v[2:3]
	v_fma_f64 v[10:11], v[0:1], 0.5, v[4:5]
	v_fma_f64 v[0:1], v[0:1], 0.5, -v[4:5]
	v_fma_f64 v[4:5], -v[8:9], v[6:7], v[19:20]
	v_fma_f64 v[2:3], -v[8:9], v[6:7], v[2:3]
	v_fma_f64 v[6:7], v[17:18], v[8:9], v[10:11]
	v_fma_f64 v[0:1], -v[17:18], v[8:9], v[0:1]
	ds_write2_b64 v21, v[6:7], v[4:5] offset0:156 offset1:157
	ds_write_b128 v12, v[0:3] offset:11616
	ds_read_b128 v[0:3], v148 offset:8448
	ds_read_b128 v[4:7], v12 offset:10560
	s_waitcnt lgkmcnt(0)
	v_add_f64 v[8:9], v[0:1], -v[4:5]
	v_add_f64 v[10:11], v[2:3], v[6:7]
	v_add_f64 v[2:3], v[2:3], -v[6:7]
	v_add_f64 v[0:1], v[0:1], v[4:5]
	v_mul_f64 v[6:7], v[8:9], 0.5
	v_mul_f64 v[8:9], v[10:11], 0.5
	;; [unrolled: 1-line block ×3, first 2 shown]
	s_waitcnt vmcnt(0)
	v_mul_f64 v[4:5], v[6:7], v[15:16]
	v_fma_f64 v[10:11], v[8:9], v[15:16], v[2:3]
	v_fma_f64 v[2:3], v[8:9], v[15:16], -v[2:3]
	v_fma_f64 v[15:16], v[0:1], 0.5, v[4:5]
	v_fma_f64 v[0:1], v[0:1], 0.5, -v[4:5]
	v_fma_f64 v[4:5], -v[13:14], v[6:7], v[10:11]
	v_fma_f64 v[2:3], -v[13:14], v[6:7], v[2:3]
	v_fma_f64 v[6:7], v[8:9], v[13:14], v[15:16]
	v_fma_f64 v[0:1], -v[8:9], v[13:14], v[0:1]
	v_add_nc_u32_e32 v8, 0x2000, v148
	ds_write2_b64 v8, v[6:7], v[4:5] offset0:32 offset1:33
	ds_write_b128 v12, v[0:3] offset:10560
	s_waitcnt lgkmcnt(0)
	s_barrier
	buffer_gl0_inv
	s_and_saveexec_b32 s0, vcc_lo
	s_cbranch_execz .LBB0_23
; %bb.21:
	v_mul_lo_u32 v0, s3, v92
	v_mul_lo_u32 v3, s2, v93
	v_mad_u64_u32 v[1:2], null, s2, v92, 0
	v_mov_b32_e32 v91, v95
	v_lshlrev_b64 v[11:12], 4, v[88:89]
	v_add_nc_u32_e32 v94, 0x42, v90
	v_lshlrev_b64 v[13:14], 4, v[90:91]
	v_add3_u32 v2, v2, v3, v0
	v_lshl_add_u32 v0, v90, 4, v147
	v_lshlrev_b64 v[15:16], 4, v[94:95]
	ds_read_b128 v[3:6], v0
	ds_read_b128 v[7:10], v0 offset:1056
	v_lshlrev_b64 v[1:2], 4, v[1:2]
	v_add_nc_u32_e32 v94, 0x84, v90
	v_add_co_u32 v1, vcc_lo, s10, v1
	v_add_co_ci_u32_e32 v2, vcc_lo, s11, v2, vcc_lo
	v_add_co_u32 v1, vcc_lo, v1, v11
	v_add_co_ci_u32_e32 v2, vcc_lo, v2, v12, vcc_lo
	;; [unrolled: 2-line block ×4, first 2 shown]
	v_lshlrev_b64 v[15:16], 4, v[94:95]
	v_add_nc_u32_e32 v94, 0xc6, v90
	s_waitcnt lgkmcnt(1)
	global_store_dwordx4 v[11:12], v[3:6], off
	s_waitcnt lgkmcnt(0)
	global_store_dwordx4 v[13:14], v[7:10], off
	ds_read_b128 v[3:6], v0 offset:2112
	ds_read_b128 v[7:10], v0 offset:3168
	v_add_co_u32 v21, vcc_lo, v1, v15
	v_lshlrev_b64 v[19:20], 4, v[94:95]
	v_add_nc_u32_e32 v94, 0x108, v90
	v_add_co_ci_u32_e32 v22, vcc_lo, v2, v16, vcc_lo
	ds_read_b128 v[11:14], v0 offset:4224
	ds_read_b128 v[15:18], v0 offset:5280
	v_lshlrev_b64 v[23:24], 4, v[94:95]
	v_add_nc_u32_e32 v94, 0x14a, v90
	v_add_co_u32 v19, vcc_lo, v1, v19
	v_add_co_ci_u32_e32 v20, vcc_lo, v2, v20, vcc_lo
	v_lshlrev_b64 v[25:26], 4, v[94:95]
	v_add_nc_u32_e32 v94, 0x18c, v90
	v_add_co_u32 v23, vcc_lo, v1, v23
	v_add_co_ci_u32_e32 v24, vcc_lo, v2, v24, vcc_lo
	v_add_co_u32 v25, vcc_lo, v1, v25
	v_lshlrev_b64 v[27:28], 4, v[94:95]
	v_add_nc_u32_e32 v94, 0x1ce, v90
	v_add_co_ci_u32_e32 v26, vcc_lo, v2, v26, vcc_lo
	s_waitcnt lgkmcnt(3)
	global_store_dwordx4 v[21:22], v[3:6], off
	s_waitcnt lgkmcnt(2)
	global_store_dwordx4 v[19:20], v[7:10], off
	;; [unrolled: 2-line block ×4, first 2 shown]
	ds_read_b128 v[3:6], v0 offset:6336
	ds_read_b128 v[7:10], v0 offset:7392
	v_lshlrev_b64 v[19:20], 4, v[94:95]
	v_add_nc_u32_e32 v94, 0x210, v90
	ds_read_b128 v[11:14], v0 offset:8448
	ds_read_b128 v[15:18], v0 offset:9504
	v_add_co_u32 v21, vcc_lo, v1, v27
	v_add_co_ci_u32_e32 v22, vcc_lo, v2, v28, vcc_lo
	v_lshlrev_b64 v[23:24], 4, v[94:95]
	v_add_nc_u32_e32 v94, 0x252, v90
	v_add_co_u32 v19, vcc_lo, v1, v19
	v_add_co_ci_u32_e32 v20, vcc_lo, v2, v20, vcc_lo
	v_lshlrev_b64 v[25:26], 4, v[94:95]
	v_add_co_u32 v23, vcc_lo, v1, v23
	v_add_co_ci_u32_e32 v24, vcc_lo, v2, v24, vcc_lo
	v_add_nc_u32_e32 v94, 0x294, v90
	v_add_co_u32 v25, vcc_lo, v1, v25
	v_add_co_ci_u32_e32 v26, vcc_lo, v2, v26, vcc_lo
	v_lshlrev_b64 v[27:28], 4, v[94:95]
	v_add_nc_u32_e32 v94, 0x2d6, v90
	s_waitcnt lgkmcnt(3)
	global_store_dwordx4 v[21:22], v[3:6], off
	s_waitcnt lgkmcnt(2)
	global_store_dwordx4 v[19:20], v[7:10], off
	;; [unrolled: 2-line block ×4, first 2 shown]
	ds_read_b128 v[3:6], v0 offset:10560
	ds_read_b128 v[7:10], v0 offset:11616
	;; [unrolled: 1-line block ×4, first 2 shown]
	v_lshlrev_b64 v[19:20], 4, v[94:95]
	v_add_nc_u32_e32 v94, 0x318, v90
	v_add_co_u32 v21, vcc_lo, v1, v27
	v_add_co_ci_u32_e32 v22, vcc_lo, v2, v28, vcc_lo
	v_lshlrev_b64 v[23:24], 4, v[94:95]
	v_add_nc_u32_e32 v94, 0x35a, v90
	v_add_co_u32 v19, vcc_lo, v1, v19
	v_add_co_ci_u32_e32 v20, vcc_lo, v2, v20, vcc_lo
	v_lshlrev_b64 v[25:26], 4, v[94:95]
	v_add_nc_u32_e32 v94, 0x39c, v90
	v_add_co_u32 v23, vcc_lo, v1, v23
	s_waitcnt lgkmcnt(3)
	global_store_dwordx4 v[21:22], v[3:6], off
	v_add_co_ci_u32_e32 v24, vcc_lo, v2, v24, vcc_lo
	v_lshlrev_b64 v[3:4], 4, v[94:95]
	v_add_nc_u32_e32 v94, 0x3de, v90
	v_add_co_u32 v25, vcc_lo, v1, v25
	v_add_co_ci_u32_e32 v26, vcc_lo, v2, v26, vcc_lo
	v_lshlrev_b64 v[21:22], 4, v[94:95]
	v_add_nc_u32_e32 v94, 0x420, v90
	s_waitcnt lgkmcnt(2)
	global_store_dwordx4 v[19:20], v[7:10], off
	s_waitcnt lgkmcnt(1)
	global_store_dwordx4 v[23:24], v[11:14], off
	;; [unrolled: 2-line block ×3, first 2 shown]
	v_add_co_u32 v19, vcc_lo, v1, v3
	v_add_co_ci_u32_e32 v20, vcc_lo, v2, v4, vcc_lo
	ds_read_b128 v[3:6], v0 offset:14784
	ds_read_b128 v[7:10], v0 offset:15840
	;; [unrolled: 1-line block ×4, first 2 shown]
	v_lshlrev_b64 v[23:24], 4, v[94:95]
	v_add_nc_u32_e32 v94, 0x462, v90
	v_add_co_u32 v21, vcc_lo, v1, v21
	v_add_co_ci_u32_e32 v22, vcc_lo, v2, v22, vcc_lo
	v_lshlrev_b64 v[25:26], 4, v[94:95]
	v_add_co_u32 v23, vcc_lo, v1, v23
	v_add_co_ci_u32_e32 v24, vcc_lo, v2, v24, vcc_lo
	v_add_co_u32 v25, vcc_lo, v1, v25
	v_add_co_ci_u32_e32 v26, vcc_lo, v2, v26, vcc_lo
	v_cmp_eq_u32_e32 vcc_lo, 0x41, v90
	s_waitcnt lgkmcnt(3)
	global_store_dwordx4 v[19:20], v[3:6], off
	s_waitcnt lgkmcnt(2)
	global_store_dwordx4 v[21:22], v[7:10], off
	;; [unrolled: 2-line block ×4, first 2 shown]
	s_and_b32 exec_lo, exec_lo, vcc_lo
	s_cbranch_execz .LBB0_23
; %bb.22:
	ds_read_b128 v[3:6], v0 offset:17968
	v_add_co_u32 v0, vcc_lo, 0x4800, v1
	v_add_co_ci_u32_e32 v1, vcc_lo, 0, v2, vcc_lo
	s_waitcnt lgkmcnt(0)
	global_store_dwordx4 v[0:1], v[3:6], off offset:576
.LBB0_23:
	s_endpgm
	.section	.rodata,"a",@progbits
	.p2align	6, 0x0
	.amdhsa_kernel fft_rtc_back_len1188_factors_6_11_2_3_3_wgs_198_tpt_66_halfLds_dp_op_CI_CI_unitstride_sbrr_R2C_dirReg
		.amdhsa_group_segment_fixed_size 0
		.amdhsa_private_segment_fixed_size 0
		.amdhsa_kernarg_size 104
		.amdhsa_user_sgpr_count 6
		.amdhsa_user_sgpr_private_segment_buffer 1
		.amdhsa_user_sgpr_dispatch_ptr 0
		.amdhsa_user_sgpr_queue_ptr 0
		.amdhsa_user_sgpr_kernarg_segment_ptr 1
		.amdhsa_user_sgpr_dispatch_id 0
		.amdhsa_user_sgpr_flat_scratch_init 0
		.amdhsa_user_sgpr_private_segment_size 0
		.amdhsa_wavefront_size32 1
		.amdhsa_uses_dynamic_stack 0
		.amdhsa_system_sgpr_private_segment_wavefront_offset 0
		.amdhsa_system_sgpr_workgroup_id_x 1
		.amdhsa_system_sgpr_workgroup_id_y 0
		.amdhsa_system_sgpr_workgroup_id_z 0
		.amdhsa_system_sgpr_workgroup_info 0
		.amdhsa_system_vgpr_workitem_id 0
		.amdhsa_next_free_vgpr 252
		.amdhsa_next_free_sgpr 40
		.amdhsa_reserve_vcc 1
		.amdhsa_reserve_flat_scratch 0
		.amdhsa_float_round_mode_32 0
		.amdhsa_float_round_mode_16_64 0
		.amdhsa_float_denorm_mode_32 3
		.amdhsa_float_denorm_mode_16_64 3
		.amdhsa_dx10_clamp 1
		.amdhsa_ieee_mode 1
		.amdhsa_fp16_overflow 0
		.amdhsa_workgroup_processor_mode 1
		.amdhsa_memory_ordered 1
		.amdhsa_forward_progress 0
		.amdhsa_shared_vgpr_count 0
		.amdhsa_exception_fp_ieee_invalid_op 0
		.amdhsa_exception_fp_denorm_src 0
		.amdhsa_exception_fp_ieee_div_zero 0
		.amdhsa_exception_fp_ieee_overflow 0
		.amdhsa_exception_fp_ieee_underflow 0
		.amdhsa_exception_fp_ieee_inexact 0
		.amdhsa_exception_int_div_zero 0
	.end_amdhsa_kernel
	.text
.Lfunc_end0:
	.size	fft_rtc_back_len1188_factors_6_11_2_3_3_wgs_198_tpt_66_halfLds_dp_op_CI_CI_unitstride_sbrr_R2C_dirReg, .Lfunc_end0-fft_rtc_back_len1188_factors_6_11_2_3_3_wgs_198_tpt_66_halfLds_dp_op_CI_CI_unitstride_sbrr_R2C_dirReg
                                        ; -- End function
	.section	.AMDGPU.csdata,"",@progbits
; Kernel info:
; codeLenInByte = 17832
; NumSgprs: 42
; NumVgprs: 252
; ScratchSize: 0
; MemoryBound: 0
; FloatMode: 240
; IeeeMode: 1
; LDSByteSize: 0 bytes/workgroup (compile time only)
; SGPRBlocks: 5
; VGPRBlocks: 31
; NumSGPRsForWavesPerEU: 42
; NumVGPRsForWavesPerEU: 252
; Occupancy: 4
; WaveLimiterHint : 1
; COMPUTE_PGM_RSRC2:SCRATCH_EN: 0
; COMPUTE_PGM_RSRC2:USER_SGPR: 6
; COMPUTE_PGM_RSRC2:TRAP_HANDLER: 0
; COMPUTE_PGM_RSRC2:TGID_X_EN: 1
; COMPUTE_PGM_RSRC2:TGID_Y_EN: 0
; COMPUTE_PGM_RSRC2:TGID_Z_EN: 0
; COMPUTE_PGM_RSRC2:TIDIG_COMP_CNT: 0
	.text
	.p2alignl 6, 3214868480
	.fill 48, 4, 3214868480
	.type	__hip_cuid_75a26576ee92a206,@object ; @__hip_cuid_75a26576ee92a206
	.section	.bss,"aw",@nobits
	.globl	__hip_cuid_75a26576ee92a206
__hip_cuid_75a26576ee92a206:
	.byte	0                               ; 0x0
	.size	__hip_cuid_75a26576ee92a206, 1

	.ident	"AMD clang version 19.0.0git (https://github.com/RadeonOpenCompute/llvm-project roc-6.4.0 25133 c7fe45cf4b819c5991fe208aaa96edf142730f1d)"
	.section	".note.GNU-stack","",@progbits
	.addrsig
	.addrsig_sym __hip_cuid_75a26576ee92a206
	.amdgpu_metadata
---
amdhsa.kernels:
  - .args:
      - .actual_access:  read_only
        .address_space:  global
        .offset:         0
        .size:           8
        .value_kind:     global_buffer
      - .offset:         8
        .size:           8
        .value_kind:     by_value
      - .actual_access:  read_only
        .address_space:  global
        .offset:         16
        .size:           8
        .value_kind:     global_buffer
      - .actual_access:  read_only
        .address_space:  global
        .offset:         24
        .size:           8
        .value_kind:     global_buffer
      - .actual_access:  read_only
        .address_space:  global
        .offset:         32
        .size:           8
        .value_kind:     global_buffer
      - .offset:         40
        .size:           8
        .value_kind:     by_value
      - .actual_access:  read_only
        .address_space:  global
        .offset:         48
        .size:           8
        .value_kind:     global_buffer
      - .actual_access:  read_only
        .address_space:  global
        .offset:         56
        .size:           8
        .value_kind:     global_buffer
      - .offset:         64
        .size:           4
        .value_kind:     by_value
      - .actual_access:  read_only
        .address_space:  global
        .offset:         72
        .size:           8
        .value_kind:     global_buffer
      - .actual_access:  read_only
        .address_space:  global
        .offset:         80
        .size:           8
        .value_kind:     global_buffer
      - .actual_access:  read_only
        .address_space:  global
        .offset:         88
        .size:           8
        .value_kind:     global_buffer
      - .actual_access:  write_only
        .address_space:  global
        .offset:         96
        .size:           8
        .value_kind:     global_buffer
    .group_segment_fixed_size: 0
    .kernarg_segment_align: 8
    .kernarg_segment_size: 104
    .language:       OpenCL C
    .language_version:
      - 2
      - 0
    .max_flat_workgroup_size: 198
    .name:           fft_rtc_back_len1188_factors_6_11_2_3_3_wgs_198_tpt_66_halfLds_dp_op_CI_CI_unitstride_sbrr_R2C_dirReg
    .private_segment_fixed_size: 0
    .sgpr_count:     42
    .sgpr_spill_count: 0
    .symbol:         fft_rtc_back_len1188_factors_6_11_2_3_3_wgs_198_tpt_66_halfLds_dp_op_CI_CI_unitstride_sbrr_R2C_dirReg.kd
    .uniform_work_group_size: 1
    .uses_dynamic_stack: false
    .vgpr_count:     252
    .vgpr_spill_count: 0
    .wavefront_size: 32
    .workgroup_processor_mode: 1
amdhsa.target:   amdgcn-amd-amdhsa--gfx1030
amdhsa.version:
  - 1
  - 2
...

	.end_amdgpu_metadata
